;; amdgpu-corpus repo=ROCm/rocFFT kind=compiled arch=gfx950 opt=O3
	.text
	.amdgcn_target "amdgcn-amd-amdhsa--gfx950"
	.amdhsa_code_object_version 6
	.protected	fft_rtc_back_len4050_factors_10_5_3_3_3_3_wgs_135_tpt_135_halfLds_sp_ip_CI_unitstride_sbrr_C2R_dirReg ; -- Begin function fft_rtc_back_len4050_factors_10_5_3_3_3_3_wgs_135_tpt_135_halfLds_sp_ip_CI_unitstride_sbrr_C2R_dirReg
	.globl	fft_rtc_back_len4050_factors_10_5_3_3_3_3_wgs_135_tpt_135_halfLds_sp_ip_CI_unitstride_sbrr_C2R_dirReg
	.p2align	8
	.type	fft_rtc_back_len4050_factors_10_5_3_3_3_3_wgs_135_tpt_135_halfLds_sp_ip_CI_unitstride_sbrr_C2R_dirReg,@function
fft_rtc_back_len4050_factors_10_5_3_3_3_3_wgs_135_tpt_135_halfLds_sp_ip_CI_unitstride_sbrr_C2R_dirReg: ; @fft_rtc_back_len4050_factors_10_5_3_3_3_3_wgs_135_tpt_135_halfLds_sp_ip_CI_unitstride_sbrr_C2R_dirReg
; %bb.0:
	s_load_dwordx2 s[8:9], s[0:1], 0x50
	s_load_dwordx4 s[4:7], s[0:1], 0x0
	s_load_dwordx2 s[10:11], s[0:1], 0x18
	v_mul_u32_u24_e32 v1, 0x1e6, v0
	v_add_u32_sdwa v6, s2, v1 dst_sel:DWORD dst_unused:UNUSED_PAD src0_sel:DWORD src1_sel:WORD_1
	v_mov_b32_e32 v4, 0
	s_waitcnt lgkmcnt(0)
	v_cmp_lt_u64_e64 s[2:3], s[6:7], 2
	v_mov_b32_e32 v7, v4
	s_and_b64 vcc, exec, s[2:3]
	v_mov_b64_e32 v[2:3], 0
	s_cbranch_vccnz .LBB0_8
; %bb.1:
	s_load_dwordx2 s[2:3], s[0:1], 0x10
	s_add_u32 s12, s10, 8
	s_addc_u32 s13, s11, 0
	s_mov_b64 s[14:15], 1
	v_mov_b64_e32 v[2:3], 0
	s_waitcnt lgkmcnt(0)
	s_add_u32 s16, s2, 8
	s_addc_u32 s17, s3, 0
.LBB0_2:                                ; =>This Inner Loop Header: Depth=1
	s_load_dwordx2 s[18:19], s[16:17], 0x0
                                        ; implicit-def: $vgpr8_vgpr9
	s_waitcnt lgkmcnt(0)
	v_or_b32_e32 v5, s19, v7
	v_cmp_ne_u64_e32 vcc, 0, v[4:5]
	s_and_saveexec_b64 s[2:3], vcc
	s_xor_b64 s[20:21], exec, s[2:3]
	s_cbranch_execz .LBB0_4
; %bb.3:                                ;   in Loop: Header=BB0_2 Depth=1
	v_cvt_f32_u32_e32 v1, s18
	v_cvt_f32_u32_e32 v5, s19
	s_sub_u32 s2, 0, s18
	s_subb_u32 s3, 0, s19
	v_fmac_f32_e32 v1, 0x4f800000, v5
	v_rcp_f32_e32 v1, v1
	s_nop 0
	v_mul_f32_e32 v1, 0x5f7ffffc, v1
	v_mul_f32_e32 v5, 0x2f800000, v1
	v_trunc_f32_e32 v5, v5
	v_fmac_f32_e32 v1, 0xcf800000, v5
	v_cvt_u32_f32_e32 v5, v5
	v_cvt_u32_f32_e32 v1, v1
	v_mul_lo_u32 v8, s2, v5
	v_mul_hi_u32 v10, s2, v1
	v_mul_lo_u32 v9, s3, v1
	v_add_u32_e32 v10, v10, v8
	v_mul_lo_u32 v12, s2, v1
	v_add_u32_e32 v13, v10, v9
	v_mul_hi_u32 v8, v1, v12
	v_mul_hi_u32 v11, v1, v13
	v_mul_lo_u32 v10, v1, v13
	v_mov_b32_e32 v9, v4
	v_lshl_add_u64 v[8:9], v[8:9], 0, v[10:11]
	v_mul_hi_u32 v11, v5, v12
	v_mul_lo_u32 v12, v5, v12
	v_add_co_u32_e32 v8, vcc, v8, v12
	v_mul_hi_u32 v10, v5, v13
	s_nop 0
	v_addc_co_u32_e32 v8, vcc, v9, v11, vcc
	v_mov_b32_e32 v9, v4
	s_nop 0
	v_addc_co_u32_e32 v11, vcc, 0, v10, vcc
	v_mul_lo_u32 v10, v5, v13
	v_lshl_add_u64 v[8:9], v[8:9], 0, v[10:11]
	v_add_co_u32_e32 v1, vcc, v1, v8
	v_mul_lo_u32 v10, s2, v1
	s_nop 0
	v_addc_co_u32_e32 v5, vcc, v5, v9, vcc
	v_mul_lo_u32 v8, s2, v5
	v_mul_hi_u32 v9, s2, v1
	v_add_u32_e32 v8, v9, v8
	v_mul_lo_u32 v9, s3, v1
	v_add_u32_e32 v12, v8, v9
	v_mul_hi_u32 v14, v5, v10
	v_mul_lo_u32 v15, v5, v10
	v_mul_hi_u32 v9, v1, v12
	v_mul_lo_u32 v8, v1, v12
	v_mul_hi_u32 v10, v1, v10
	v_mov_b32_e32 v11, v4
	v_lshl_add_u64 v[8:9], v[10:11], 0, v[8:9]
	v_add_co_u32_e32 v8, vcc, v8, v15
	v_mul_hi_u32 v13, v5, v12
	s_nop 0
	v_addc_co_u32_e32 v8, vcc, v9, v14, vcc
	v_mul_lo_u32 v10, v5, v12
	s_nop 0
	v_addc_co_u32_e32 v11, vcc, 0, v13, vcc
	v_mov_b32_e32 v9, v4
	v_lshl_add_u64 v[8:9], v[8:9], 0, v[10:11]
	v_add_co_u32_e32 v1, vcc, v1, v8
	v_mul_hi_u32 v10, v6, v1
	s_nop 0
	v_addc_co_u32_e32 v5, vcc, v5, v9, vcc
	v_mad_u64_u32 v[8:9], s[2:3], v6, v5, 0
	v_mov_b32_e32 v11, v4
	v_lshl_add_u64 v[8:9], v[10:11], 0, v[8:9]
	v_mad_u64_u32 v[12:13], s[2:3], v7, v1, 0
	v_add_co_u32_e32 v1, vcc, v8, v12
	v_mad_u64_u32 v[10:11], s[2:3], v7, v5, 0
	s_nop 0
	v_addc_co_u32_e32 v8, vcc, v9, v13, vcc
	v_mov_b32_e32 v9, v4
	s_nop 0
	v_addc_co_u32_e32 v11, vcc, 0, v11, vcc
	v_lshl_add_u64 v[8:9], v[8:9], 0, v[10:11]
	v_mul_lo_u32 v1, s19, v8
	v_mul_lo_u32 v5, s18, v9
	v_mad_u64_u32 v[10:11], s[2:3], s18, v8, 0
	v_add3_u32 v1, v11, v5, v1
	v_sub_u32_e32 v5, v7, v1
	v_mov_b32_e32 v11, s19
	v_sub_co_u32_e32 v14, vcc, v6, v10
	v_lshl_add_u64 v[12:13], v[8:9], 0, 1
	s_nop 0
	v_subb_co_u32_e64 v5, s[2:3], v5, v11, vcc
	v_subrev_co_u32_e64 v10, s[2:3], s18, v14
	v_subb_co_u32_e32 v1, vcc, v7, v1, vcc
	s_nop 0
	v_subbrev_co_u32_e64 v5, s[2:3], 0, v5, s[2:3]
	v_cmp_le_u32_e64 s[2:3], s19, v5
	v_cmp_le_u32_e32 vcc, s19, v1
	s_nop 0
	v_cndmask_b32_e64 v11, 0, -1, s[2:3]
	v_cmp_le_u32_e64 s[2:3], s18, v10
	s_nop 1
	v_cndmask_b32_e64 v10, 0, -1, s[2:3]
	v_cmp_eq_u32_e64 s[2:3], s19, v5
	s_nop 1
	v_cndmask_b32_e64 v5, v11, v10, s[2:3]
	v_lshl_add_u64 v[10:11], v[8:9], 0, 2
	v_cmp_ne_u32_e64 s[2:3], 0, v5
	s_nop 1
	v_cndmask_b32_e64 v5, v13, v11, s[2:3]
	v_cndmask_b32_e64 v11, 0, -1, vcc
	v_cmp_le_u32_e32 vcc, s18, v14
	s_nop 1
	v_cndmask_b32_e64 v13, 0, -1, vcc
	v_cmp_eq_u32_e32 vcc, s19, v1
	s_nop 1
	v_cndmask_b32_e32 v1, v11, v13, vcc
	v_cmp_ne_u32_e32 vcc, 0, v1
	v_cndmask_b32_e64 v1, v12, v10, s[2:3]
	s_nop 0
	v_cndmask_b32_e32 v9, v9, v5, vcc
	v_cndmask_b32_e32 v8, v8, v1, vcc
.LBB0_4:                                ;   in Loop: Header=BB0_2 Depth=1
	s_andn2_saveexec_b64 s[2:3], s[20:21]
	s_cbranch_execz .LBB0_6
; %bb.5:                                ;   in Loop: Header=BB0_2 Depth=1
	v_cvt_f32_u32_e32 v1, s18
	s_sub_i32 s20, 0, s18
	v_rcp_iflag_f32_e32 v1, v1
	s_nop 0
	v_mul_f32_e32 v1, 0x4f7ffffe, v1
	v_cvt_u32_f32_e32 v1, v1
	v_mul_lo_u32 v5, s20, v1
	v_mul_hi_u32 v5, v1, v5
	v_add_u32_e32 v1, v1, v5
	v_mul_hi_u32 v1, v6, v1
	v_mul_lo_u32 v5, v1, s18
	v_sub_u32_e32 v5, v6, v5
	v_add_u32_e32 v8, 1, v1
	v_subrev_u32_e32 v9, s18, v5
	v_cmp_le_u32_e32 vcc, s18, v5
	s_nop 1
	v_cndmask_b32_e32 v5, v5, v9, vcc
	v_cndmask_b32_e32 v1, v1, v8, vcc
	v_add_u32_e32 v8, 1, v1
	v_cmp_le_u32_e32 vcc, s18, v5
	v_mov_b32_e32 v9, v4
	s_nop 0
	v_cndmask_b32_e32 v8, v1, v8, vcc
.LBB0_6:                                ;   in Loop: Header=BB0_2 Depth=1
	s_or_b64 exec, exec, s[2:3]
	v_mad_u64_u32 v[10:11], s[2:3], v8, s18, 0
	s_load_dwordx2 s[2:3], s[12:13], 0x0
	v_mul_lo_u32 v1, v9, s18
	v_mul_lo_u32 v5, v8, s19
	v_add3_u32 v1, v11, v5, v1
	v_sub_co_u32_e32 v5, vcc, v6, v10
	s_add_u32 s14, s14, 1
	s_nop 0
	v_subb_co_u32_e32 v1, vcc, v7, v1, vcc
	s_addc_u32 s15, s15, 0
	s_waitcnt lgkmcnt(0)
	v_mul_lo_u32 v1, s2, v1
	v_mul_lo_u32 v6, s3, v5
	v_mad_u64_u32 v[2:3], s[2:3], s2, v5, v[2:3]
	s_add_u32 s12, s12, 8
	v_add3_u32 v3, v6, v3, v1
	s_addc_u32 s13, s13, 0
	v_mov_b64_e32 v[6:7], s[6:7]
	s_add_u32 s16, s16, 8
	v_cmp_ge_u64_e32 vcc, s[14:15], v[6:7]
	s_addc_u32 s17, s17, 0
	s_cbranch_vccnz .LBB0_9
; %bb.7:                                ;   in Loop: Header=BB0_2 Depth=1
	v_mov_b64_e32 v[6:7], v[8:9]
	s_branch .LBB0_2
.LBB0_8:
	v_mov_b64_e32 v[8:9], v[6:7]
.LBB0_9:
	s_lshl_b64 s[2:3], s[6:7], 3
	s_add_u32 s2, s10, s2
	s_addc_u32 s3, s11, s3
	s_load_dwordx2 s[6:7], s[2:3], 0x0
	s_load_dwordx2 s[10:11], s[0:1], 0x20
	s_mov_b32 s2, 0x1e573ad
	s_waitcnt lgkmcnt(0)
	v_mul_lo_u32 v1, s6, v9
	v_mul_lo_u32 v4, s7, v8
	v_mad_u64_u32 v[2:3], s[0:1], s6, v8, v[2:3]
	v_add3_u32 v3, v4, v3, v1
	v_mul_hi_u32 v1, v0, s2
	v_mul_u32_u24_e32 v1, 0x87, v1
	v_cmp_gt_u64_e64 s[0:1], s[10:11], v[8:9]
	v_sub_u32_e32 v62, v0, v1
	v_lshl_add_u64 v[60:61], v[2:3], 3, s[8:9]
	s_and_saveexec_b64 s[2:3], s[0:1]
	s_cbranch_execz .LBB0_13
; %bb.10:
	v_mov_b32_e32 v63, 0
	v_lshl_add_u64 v[0:1], v[62:63], 3, v[60:61]
	v_add_co_u32_e32 v4, vcc, 0x1000, v0
	global_load_dwordx2 v[2:3], v[0:1], off offset:3240
	s_nop 0
	v_addc_co_u32_e32 v5, vcc, 0, v1, vcc
	v_add_co_u32_e32 v12, vcc, 0x2000, v0
	global_load_dwordx2 v[6:7], v[0:1], off
	global_load_dwordx2 v[8:9], v[0:1], off offset:2160
	global_load_dwordx2 v[10:11], v[0:1], off offset:1080
	v_addc_co_u32_e32 v13, vcc, 0, v1, vcc
	global_load_dwordx2 v[14:15], v[4:5], off offset:224
	global_load_dwordx2 v[16:17], v[4:5], off offset:1304
	global_load_dwordx2 v[18:19], v[4:5], off offset:2384
	global_load_dwordx2 v[20:21], v[4:5], off offset:3464
	v_add_co_u32_e32 v4, vcc, 0x3000, v0
	global_load_dwordx2 v[22:23], v[12:13], off offset:448
	global_load_dwordx2 v[24:25], v[12:13], off offset:1528
	global_load_dwordx2 v[26:27], v[12:13], off offset:2608
	global_load_dwordx2 v[28:29], v[12:13], off offset:3688
	v_addc_co_u32_e32 v5, vcc, 0, v1, vcc
	v_add_co_u32_e32 v12, vcc, 0x4000, v0
	global_load_dwordx2 v[30:31], v[4:5], off offset:672
	global_load_dwordx2 v[32:33], v[4:5], off offset:1752
	;; [unrolled: 1-line block ×4, first 2 shown]
	v_addc_co_u32_e32 v13, vcc, 0, v1, vcc
	v_add_co_u32_e32 v4, vcc, 0x5000, v0
	s_movk_i32 s6, 0x86
	s_nop 0
	v_addc_co_u32_e32 v5, vcc, 0, v1, vcc
	v_add_co_u32_e32 v38, vcc, 0x6000, v0
	global_load_dwordx2 v[40:41], v[12:13], off offset:896
	global_load_dwordx2 v[42:43], v[12:13], off offset:1976
	;; [unrolled: 1-line block ×4, first 2 shown]
	v_addc_co_u32_e32 v39, vcc, 0, v1, vcc
	v_add_co_u32_e32 v0, vcc, 0x7000, v0
	s_nop 1
	v_addc_co_u32_e32 v1, vcc, 0, v1, vcc
	global_load_dwordx2 v[12:13], v[4:5], off offset:1120
	global_load_dwordx2 v[48:49], v[4:5], off offset:2200
	;; [unrolled: 1-line block ×10, first 2 shown]
	v_lshl_add_u32 v0, v62, 3, 0
	v_add_u32_e32 v1, 0x800, v0
	v_add_u32_e32 v4, 0x1000, v0
	v_add_u32_e32 v5, 0x1800, v0
	v_add_u32_e32 v38, 0x2000, v0
	v_add_u32_e32 v39, 0x2800, v0
	v_add_u32_e32 v70, 0x3000, v0
	v_add_u32_e32 v71, 0x3800, v0
	v_add_u32_e32 v72, 0x4000, v0
	v_add_u32_e32 v73, 0x4a00, v0
	v_add_u32_e32 v74, 0x5400, v0
	v_cmp_eq_u32_e32 vcc, s6, v62
	s_waitcnt vmcnt(27)
	ds_write2_b64 v1, v[8:9], v[2:3] offset0:14 offset1:149
	s_waitcnt vmcnt(26)
	ds_write2_b64 v0, v[6:7], v[10:11] offset1:135
	s_waitcnt vmcnt(24)
	ds_write2_b64 v4, v[14:15], v[16:17] offset0:28 offset1:163
	s_waitcnt vmcnt(22)
	ds_write2_b64 v5, v[18:19], v[20:21] offset0:42 offset1:177
	;; [unrolled: 2-line block ×9, first 2 shown]
	v_add_u32_e32 v1, 0x5c00, v0
	s_waitcnt vmcnt(6)
	ds_write2_b64 v1, v[50:51], v[52:53] offset0:26 offset1:161
	v_add_u32_e32 v1, 0x6400, v0
	s_waitcnt vmcnt(4)
	ds_write2_b64 v1, v[54:55], v[56:57] offset0:40 offset1:175
	v_add_u32_e32 v1, 0x6c00, v0
	v_add_u32_e32 v0, 0x7400, v0
	s_waitcnt vmcnt(2)
	ds_write2_b64 v1, v[58:59], v[64:65] offset0:54 offset1:189
	s_waitcnt vmcnt(0)
	ds_write2_b64 v0, v[66:67], v[68:69] offset0:68 offset1:203
	s_and_saveexec_b64 s[6:7], vcc
	s_cbranch_execz .LBB0_12
; %bb.11:
	v_add_co_u32_e32 v0, vcc, 0x7000, v60
	v_mov_b32_e32 v62, 0x86
	s_nop 0
	v_addc_co_u32_e32 v1, vcc, 0, v61, vcc
	global_load_dwordx2 v[0:1], v[0:1], off offset:3728
	s_waitcnt vmcnt(0)
	ds_write_b64 v63, v[0:1] offset:32400
.LBB0_12:
	s_or_b64 exec, exec, s[6:7]
.LBB0_13:
	s_or_b64 exec, exec, s[2:3]
	v_lshlrev_b32_e32 v0, 3, v62
	v_add_u32_e32 v110, 0, v0
	s_waitcnt lgkmcnt(0)
	s_barrier
	v_sub_u32_e32 v4, 0, v0
	ds_read_b32 v0, v110
	ds_read_b32 v1, v4 offset:32400
	s_add_u32 s2, s4, 0x7e40
	s_addc_u32 s3, s5, 0
	v_cmp_ne_u32_e32 vcc, 0, v62
	s_waitcnt lgkmcnt(0)
	v_add_f32_e32 v2, v1, v0
	v_sub_f32_e32 v3, v0, v1
                                        ; implicit-def: $vgpr0_vgpr1
	s_and_saveexec_b64 s[6:7], vcc
	s_xor_b64 s[6:7], exec, s[6:7]
	s_cbranch_execz .LBB0_15
; %bb.14:
	v_mov_b32_e32 v63, 0
	v_lshl_add_u64 v[0:1], v[62:63], 3, s[2:3]
	global_load_dwordx2 v[6:7], v[0:1], off
	ds_read_b32 v5, v4 offset:32404
	ds_read_b32 v11, v110 offset:4
	v_mov_b32_e32 v8, v3
	v_mov_b32_e32 v10, v2
	v_mov_b32_e32 v13, v3
	v_mov_b64_e32 v[0:1], v[62:63]
	s_waitcnt lgkmcnt(0)
	v_add_f32_e32 v9, v5, v11
	v_sub_f32_e32 v11, v11, v5
	v_mov_b32_e32 v12, v9
	s_waitcnt vmcnt(0)
	v_pk_mul_f32 v[14:15], v[8:9], v[6:7] op_sel:[0,1]
	v_pk_fma_f32 v[8:9], v[8:9], v[6:7], v[10:11] op_sel:[0,1,0]
	v_mov_b32_e32 v3, v15
	v_mov_b32_e32 v15, v11
	v_pk_fma_f32 v[16:17], v[6:7], v[12:13], v[8:9] neg_lo:[1,0,0] neg_hi:[1,0,0]
	v_pk_fma_f32 v[8:9], v[6:7], v[12:13], v[8:9] op_sel_hi:[0,1,1]
	v_pk_add_f32 v[2:3], v[2:3], v[14:15] neg_lo:[0,1] neg_hi:[0,1]
	v_mov_b32_e32 v17, v9
	v_pk_fma_f32 v[2:3], v[6:7], v[12:13], v[2:3] op_sel_hi:[0,1,1]
	ds_write_b64 v4, v[2:3] offset:32400
	v_mov_b64_e32 v[2:3], v[16:17]
.LBB0_15:
	s_andn2_saveexec_b64 s[6:7], s[6:7]
	s_cbranch_execz .LBB0_17
; %bb.16:
	v_mov_b32_e32 v5, 0
	ds_read_b64 v[0:1], v5 offset:16200
	s_mov_b32 s8, 2.0
	s_mov_b32 s9, -2.0
	s_waitcnt lgkmcnt(0)
	v_pk_mul_f32 v[0:1], v[0:1], s[8:9]
	ds_write_b64 v5, v[0:1] offset:16200
	v_mov_b64_e32 v[0:1], 0
.LBB0_17:
	s_or_b64 exec, exec, s[6:7]
	v_lshl_add_u64 v[0:1], v[0:1], 3, s[2:3]
	global_load_dwordx2 v[6:7], v[0:1], off offset:1080
	v_add_u32_e32 v64, 0x10e, v62
	v_mov_b32_e32 v65, 0
	v_lshl_add_u64 v[8:9], v[64:65], 3, s[2:3]
	global_load_dwordx2 v[8:9], v[8:9], off
	v_add_u32_e32 v68, 0x195, v62
	v_mov_b32_e32 v69, v65
	v_lshl_add_u64 v[10:11], v[68:69], 3, s[2:3]
	global_load_dwordx2 v[10:11], v[10:11], off
	v_add_u32_e32 v74, 0x21c, v62
	v_mov_b32_e32 v75, v65
	ds_write_b64 v110, v[2:3]
	v_lshl_add_u64 v[14:15], v[74:75], 3, s[2:3]
	ds_read_b64 v[2:3], v110 offset:1080
	ds_read_b64 v[12:13], v4 offset:31320
	global_load_dwordx2 v[14:15], v[14:15], off
	v_add_u32_e32 v66, 0x2a3, v62
	v_mov_b32_e32 v67, v65
	v_lshl_add_u32 v111, v64, 3, 0
	s_waitcnt lgkmcnt(0)
	v_pk_add_f32 v[16:17], v[2:3], v[12:13] neg_lo:[0,1] neg_hi:[0,1]
	v_pk_add_f32 v[2:3], v[2:3], v[12:13]
	v_mov_b32_e32 v12, v16
	v_mov_b32_e32 v13, v3
	;; [unrolled: 1-line block ×6, first 2 shown]
	s_movk_i32 s6, 0x1000
	v_lshl_add_u32 v63, v68, 3, 0
	v_lshl_add_u32 v69, v74, 3, 0
	v_add_u32_e32 v70, 0x438, v62
	v_mov_b32_e32 v71, v65
	v_add_u32_e32 v72, 0x4bf, v62
	v_mov_b32_e32 v73, v65
	s_movk_i32 s11, 0x2000
	v_add_u32_e32 v75, 0x1800, v110
	v_add_u32_e32 v117, 0x3000, v110
	v_add_u32_e32 v114, 0x4a00, v110
	v_add_u32_e32 v115, 0x6400, v110
	v_add_u32_e32 v121, 0x2000, v110
	v_add_u32_e32 v116, 0x3800, v110
	v_add_u32_e32 v113, 0x5400, v110
	v_add_u32_e32 v112, 0x6c00, v110
	s_mov_b32 s8, 0x3e9e377a
	s_mov_b32 s10, 0x3f4f1bbd
	v_add_u32_e32 v118, 0x2800, v110
	v_add_u32_e32 v120, 0x5c00, v110
	;; [unrolled: 1-line block ×3, first 2 shown]
	s_movk_i32 s12, 0x48
	s_mov_b32 s16, 0xbe9e377a
	s_mov_b32 s14, 0xbf4f1bbd
	s_waitcnt vmcnt(3)
	v_pk_mul_f32 v[22:23], v[12:13], v[6:7] op_sel:[0,1]
	v_pk_fma_f32 v[12:13], v[12:13], v[6:7], v[18:19] op_sel:[0,1,0]
	v_mov_b32_e32 v3, v23
	v_mov_b32_e32 v23, v17
	v_pk_fma_f32 v[18:19], v[6:7], v[20:21], v[12:13] neg_lo:[1,0,0] neg_hi:[1,0,0]
	v_pk_fma_f32 v[12:13], v[6:7], v[20:21], v[12:13] op_sel_hi:[0,1,1]
	v_pk_add_f32 v[2:3], v[2:3], v[22:23] neg_lo:[0,1] neg_hi:[0,1]
	v_mov_b32_e32 v19, v13
	v_pk_fma_f32 v[2:3], v[6:7], v[20:21], v[2:3] op_sel_hi:[0,1,1]
	ds_write_b64 v110, v[18:19] offset:1080
	ds_write_b64 v4, v[2:3] offset:31320
	v_lshl_add_u64 v[12:13], v[66:67], 3, s[2:3]
	ds_read_b64 v[2:3], v4 offset:30240
	ds_read_b64 v[6:7], v111
	global_load_dwordx2 v[12:13], v[12:13], off
	v_lshl_add_u32 v67, v66, 3, 0
	s_waitcnt lgkmcnt(0)
	v_pk_add_f32 v[16:17], v[6:7], v[2:3] neg_lo:[0,1] neg_hi:[0,1]
	v_pk_add_f32 v[2:3], v[6:7], v[2:3]
	v_mov_b32_e32 v6, v16
	v_mov_b32_e32 v7, v3
	;; [unrolled: 1-line block ×4, first 2 shown]
	s_waitcnt vmcnt(3)
	v_pk_mul_f32 v[22:23], v[6:7], v[8:9] op_sel:[0,1]
	v_mov_b32_e32 v20, v3
	v_mov_b32_e32 v21, v16
	v_pk_fma_f32 v[6:7], v[6:7], v[8:9], v[18:19] op_sel:[0,1,0]
	v_mov_b32_e32 v3, v23
	v_mov_b32_e32 v23, v17
	v_pk_fma_f32 v[18:19], v[8:9], v[20:21], v[6:7] neg_lo:[1,0,0] neg_hi:[1,0,0]
	v_pk_fma_f32 v[6:7], v[8:9], v[20:21], v[6:7] op_sel_hi:[0,1,1]
	v_pk_add_f32 v[2:3], v[2:3], v[22:23] neg_lo:[0,1] neg_hi:[0,1]
	v_mov_b32_e32 v19, v7
	v_pk_fma_f32 v[2:3], v[8:9], v[20:21], v[2:3] op_sel_hi:[0,1,1]
	v_add_co_u32_e32 v8, vcc, s6, v0
	ds_write_b64 v111, v[18:19]
	ds_write_b64 v4, v[2:3] offset:30240
	v_addc_co_u32_e32 v9, vcc, 0, v1, vcc
	ds_read_b64 v[2:3], v4 offset:29160
	ds_read_b64 v[6:7], v63
	global_load_dwordx2 v[16:17], v[8:9], off offset:2384
	s_mov_b32 s6, 0x3f167918
	s_mov_b32 s15, s6
	s_waitcnt lgkmcnt(0)
	v_pk_add_f32 v[18:19], v[6:7], v[2:3] neg_lo:[0,1] neg_hi:[0,1]
	v_pk_add_f32 v[2:3], v[6:7], v[2:3]
	v_mov_b32_e32 v6, v18
	v_mov_b32_e32 v7, v3
	;; [unrolled: 1-line block ×4, first 2 shown]
	s_waitcnt vmcnt(3)
	v_pk_mul_f32 v[24:25], v[6:7], v[10:11] op_sel:[0,1]
	v_mov_b32_e32 v22, v3
	v_mov_b32_e32 v23, v18
	v_pk_fma_f32 v[6:7], v[6:7], v[10:11], v[20:21] op_sel:[0,1,0]
	v_mov_b32_e32 v3, v25
	v_mov_b32_e32 v25, v19
	v_pk_fma_f32 v[20:21], v[10:11], v[22:23], v[6:7] neg_lo:[1,0,0] neg_hi:[1,0,0]
	v_pk_fma_f32 v[6:7], v[10:11], v[22:23], v[6:7] op_sel_hi:[0,1,1]
	v_pk_add_f32 v[2:3], v[2:3], v[24:25] neg_lo:[0,1] neg_hi:[0,1]
	v_mov_b32_e32 v21, v7
	v_pk_fma_f32 v[2:3], v[10:11], v[22:23], v[2:3] op_sel_hi:[0,1,1]
	ds_write_b64 v63, v[20:21]
	ds_write_b64 v4, v[2:3] offset:29160
	ds_read_b64 v[2:3], v4 offset:28080
	ds_read_b64 v[6:7], v69
	global_load_dwordx2 v[8:9], v[8:9], off offset:3464
	s_waitcnt lgkmcnt(0)
	v_pk_add_f32 v[10:11], v[6:7], v[2:3] neg_lo:[0,1] neg_hi:[0,1]
	v_pk_add_f32 v[2:3], v[6:7], v[2:3]
	v_mov_b32_e32 v6, v10
	v_mov_b32_e32 v7, v3
	;; [unrolled: 1-line block ×4, first 2 shown]
	s_waitcnt vmcnt(3)
	v_pk_mul_f32 v[22:23], v[6:7], v[14:15] op_sel:[0,1]
	v_mov_b32_e32 v20, v3
	v_mov_b32_e32 v21, v10
	v_pk_fma_f32 v[6:7], v[6:7], v[14:15], v[18:19] op_sel:[0,1,0]
	v_mov_b32_e32 v3, v23
	v_mov_b32_e32 v23, v11
	v_pk_fma_f32 v[18:19], v[14:15], v[20:21], v[6:7] neg_lo:[1,0,0] neg_hi:[1,0,0]
	v_pk_fma_f32 v[6:7], v[14:15], v[20:21], v[6:7] op_sel_hi:[0,1,1]
	v_pk_add_f32 v[2:3], v[2:3], v[22:23] neg_lo:[0,1] neg_hi:[0,1]
	v_mov_b32_e32 v19, v7
	v_pk_fma_f32 v[2:3], v[14:15], v[20:21], v[2:3] op_sel_hi:[0,1,1]
	ds_write_b64 v69, v[18:19]
	ds_write_b64 v4, v[2:3] offset:28080
	ds_read_b64 v[2:3], v4 offset:27000
	ds_read_b64 v[6:7], v67
	v_lshl_add_u64 v[10:11], v[70:71], 3, s[2:3]
	global_load_dwordx2 v[10:11], v[10:11], off
	v_lshl_add_u32 v71, v70, 3, 0
	s_waitcnt lgkmcnt(0)
	v_pk_add_f32 v[14:15], v[6:7], v[2:3] neg_lo:[0,1] neg_hi:[0,1]
	v_pk_add_f32 v[2:3], v[6:7], v[2:3]
	v_mov_b32_e32 v6, v14
	v_mov_b32_e32 v7, v3
	;; [unrolled: 1-line block ×4, first 2 shown]
	s_waitcnt vmcnt(3)
	v_pk_mul_f32 v[22:23], v[6:7], v[12:13] op_sel:[0,1]
	v_mov_b32_e32 v20, v3
	v_mov_b32_e32 v21, v14
	v_pk_fma_f32 v[6:7], v[6:7], v[12:13], v[18:19] op_sel:[0,1,0]
	v_mov_b32_e32 v3, v23
	v_mov_b32_e32 v23, v15
	v_pk_fma_f32 v[18:19], v[12:13], v[20:21], v[6:7] neg_lo:[1,0,0] neg_hi:[1,0,0]
	v_pk_fma_f32 v[6:7], v[12:13], v[20:21], v[6:7] op_sel_hi:[0,1,1]
	v_pk_add_f32 v[2:3], v[2:3], v[22:23] neg_lo:[0,1] neg_hi:[0,1]
	v_mov_b32_e32 v19, v7
	v_pk_fma_f32 v[2:3], v[12:13], v[20:21], v[2:3] op_sel_hi:[0,1,1]
	ds_write_b64 v67, v[18:19]
	ds_write_b64 v4, v[2:3] offset:27000
	ds_read_b64 v[2:3], v4 offset:25920
	ds_read_b64 v[6:7], v110 offset:6480
	v_add_co_u32_e32 v22, vcc, s11, v0
	s_waitcnt lgkmcnt(0)
	v_pk_add_f32 v[12:13], v[6:7], v[2:3] neg_lo:[0,1] neg_hi:[0,1]
	v_pk_add_f32 v[2:3], v[6:7], v[2:3]
	v_mov_b32_e32 v6, v12
	v_mov_b32_e32 v7, v3
	;; [unrolled: 1-line block ×4, first 2 shown]
	s_waitcnt vmcnt(2)
	v_pk_mul_f32 v[18:19], v[6:7], v[16:17] op_sel:[0,1]
	v_pk_fma_f32 v[6:7], v[6:7], v[16:17], v[14:15] op_sel:[0,1,0]
	v_mov_b32_e32 v14, v3
	v_mov_b32_e32 v15, v12
	v_pk_fma_f32 v[20:21], v[16:17], v[14:15], v[6:7] neg_lo:[1,0,0] neg_hi:[1,0,0]
	v_pk_fma_f32 v[6:7], v[16:17], v[14:15], v[6:7] op_sel_hi:[0,1,1]
	v_mov_b32_e32 v21, v7
	v_lshl_add_u64 v[6:7], v[72:73], 3, s[2:3]
	global_load_dwordx2 v[6:7], v[6:7], off
	v_mov_b32_e32 v3, v19
	v_mov_b32_e32 v19, v13
	v_pk_add_f32 v[2:3], v[2:3], v[18:19] neg_lo:[0,1] neg_hi:[0,1]
	ds_write_b64 v110, v[20:21] offset:6480
	v_pk_fma_f32 v[2:3], v[16:17], v[14:15], v[2:3] op_sel_hi:[0,1,1]
	ds_write_b64 v4, v[2:3] offset:25920
	v_addc_co_u32_e32 v23, vcc, 0, v1, vcc
	ds_read_b64 v[2:3], v4 offset:24840
	ds_read_b64 v[12:13], v110 offset:7560
	global_load_dwordx2 v[24:25], v[22:23], off offset:2608
	s_movk_i32 s2, 0x3000
	v_add_co_u32_e32 v0, vcc, s2, v0
	s_waitcnt lgkmcnt(0)
	v_pk_add_f32 v[14:15], v[12:13], v[2:3] neg_lo:[0,1] neg_hi:[0,1]
	v_pk_add_f32 v[2:3], v[12:13], v[2:3]
	v_mov_b32_e32 v12, v14
	v_mov_b32_e32 v13, v3
	;; [unrolled: 1-line block ×4, first 2 shown]
	s_waitcnt vmcnt(3)
	v_pk_mul_f32 v[18:19], v[12:13], v[8:9] op_sel:[0,1]
	v_pk_fma_f32 v[12:13], v[12:13], v[8:9], v[16:17] op_sel:[0,1,0]
	v_mov_b32_e32 v16, v3
	v_mov_b32_e32 v17, v14
	;; [unrolled: 1-line block ×4, first 2 shown]
	v_pk_fma_f32 v[20:21], v[8:9], v[16:17], v[12:13] neg_lo:[1,0,0] neg_hi:[1,0,0]
	v_pk_fma_f32 v[12:13], v[8:9], v[16:17], v[12:13] op_sel_hi:[0,1,1]
	v_pk_add_f32 v[2:3], v[2:3], v[18:19] neg_lo:[0,1] neg_hi:[0,1]
	v_mov_b32_e32 v21, v13
	v_pk_fma_f32 v[2:3], v[8:9], v[16:17], v[2:3] op_sel_hi:[0,1,1]
	ds_write_b64 v110, v[20:21] offset:7560
	ds_write_b64 v4, v[2:3] offset:24840
	ds_read_b64 v[2:3], v4 offset:23760
	ds_read_b64 v[8:9], v71
	global_load_dwordx2 v[20:21], v[22:23], off offset:3688
	v_addc_co_u32_e32 v1, vcc, 0, v1, vcc
	v_lshl_add_u32 v73, v72, 3, 0
	s_waitcnt lgkmcnt(0)
	v_pk_add_f32 v[12:13], v[8:9], v[2:3] neg_lo:[0,1] neg_hi:[0,1]
	v_pk_add_f32 v[2:3], v[8:9], v[2:3]
	v_mov_b32_e32 v8, v12
	v_mov_b32_e32 v9, v3
	;; [unrolled: 1-line block ×4, first 2 shown]
	s_waitcnt vmcnt(3)
	v_pk_mul_f32 v[16:17], v[8:9], v[10:11] op_sel:[0,1]
	v_pk_fma_f32 v[8:9], v[8:9], v[10:11], v[14:15] op_sel:[0,1,0]
	v_mov_b32_e32 v14, v3
	v_mov_b32_e32 v15, v12
	;; [unrolled: 1-line block ×4, first 2 shown]
	v_pk_fma_f32 v[18:19], v[10:11], v[14:15], v[8:9] neg_lo:[1,0,0] neg_hi:[1,0,0]
	v_pk_fma_f32 v[8:9], v[10:11], v[14:15], v[8:9] op_sel_hi:[0,1,1]
	v_pk_add_f32 v[2:3], v[2:3], v[16:17] neg_lo:[0,1] neg_hi:[0,1]
	v_mov_b32_e32 v19, v9
	v_pk_fma_f32 v[2:3], v[10:11], v[14:15], v[2:3] op_sel_hi:[0,1,1]
	ds_write_b64 v71, v[18:19]
	ds_write_b64 v4, v[2:3] offset:23760
	ds_read_b64 v[2:3], v4 offset:22680
	ds_read_b64 v[8:9], v73
	global_load_dwordx2 v[12:13], v[0:1], off offset:672
	s_mov_b32 s2, 0x3f737871
	s_mov_b32 s13, s2
	;; [unrolled: 1-line block ×3, first 2 shown]
	s_waitcnt lgkmcnt(0)
	v_pk_add_f32 v[10:11], v[8:9], v[2:3] neg_lo:[0,1] neg_hi:[0,1]
	v_pk_add_f32 v[2:3], v[8:9], v[2:3]
	v_mov_b32_e32 v8, v10
	v_mov_b32_e32 v9, v3
	;; [unrolled: 1-line block ×4, first 2 shown]
	v_cmp_gt_u32_e32 vcc, 15, v62
	s_waitcnt vmcnt(3)
	v_pk_mul_f32 v[16:17], v[8:9], v[6:7] op_sel:[0,1]
	v_pk_fma_f32 v[8:9], v[8:9], v[6:7], v[14:15] op_sel:[0,1,0]
	v_mov_b32_e32 v14, v3
	v_mov_b32_e32 v15, v10
	;; [unrolled: 1-line block ×4, first 2 shown]
	v_pk_fma_f32 v[18:19], v[6:7], v[14:15], v[8:9] neg_lo:[1,0,0] neg_hi:[1,0,0]
	v_pk_fma_f32 v[8:9], v[6:7], v[14:15], v[8:9] op_sel_hi:[0,1,1]
	v_pk_add_f32 v[2:3], v[2:3], v[16:17] neg_lo:[0,1] neg_hi:[0,1]
	v_mov_b32_e32 v19, v9
	v_pk_fma_f32 v[2:3], v[6:7], v[14:15], v[2:3] op_sel_hi:[0,1,1]
	ds_write_b64 v73, v[18:19]
	ds_write_b64 v4, v[2:3] offset:22680
	ds_read_b64 v[2:3], v4 offset:21600
	ds_read_b64 v[6:7], v110 offset:10800
	global_load_dwordx2 v[10:11], v[0:1], off offset:1752
	s_waitcnt lgkmcnt(0)
	v_pk_add_f32 v[8:9], v[6:7], v[2:3] neg_lo:[0,1] neg_hi:[0,1]
	v_pk_add_f32 v[2:3], v[6:7], v[2:3]
	v_mov_b32_e32 v6, v8
	v_mov_b32_e32 v7, v3
	;; [unrolled: 1-line block ×4, first 2 shown]
	s_waitcnt vmcnt(3)
	v_pk_mul_f32 v[16:17], v[6:7], v[24:25] op_sel:[0,1]
	v_pk_fma_f32 v[6:7], v[6:7], v[24:25], v[14:15] op_sel:[0,1,0]
	v_mov_b32_e32 v14, v3
	v_mov_b32_e32 v15, v8
	;; [unrolled: 1-line block ×4, first 2 shown]
	v_pk_fma_f32 v[18:19], v[24:25], v[14:15], v[6:7] neg_lo:[1,0,0] neg_hi:[1,0,0]
	v_pk_fma_f32 v[6:7], v[24:25], v[14:15], v[6:7] op_sel_hi:[0,1,1]
	v_pk_add_f32 v[2:3], v[2:3], v[16:17] neg_lo:[0,1] neg_hi:[0,1]
	v_mov_b32_e32 v19, v7
	v_pk_fma_f32 v[2:3], v[24:25], v[14:15], v[2:3] op_sel_hi:[0,1,1]
	ds_write_b64 v110, v[18:19] offset:10800
	ds_write_b64 v4, v[2:3] offset:21600
	ds_read_b64 v[2:3], v4 offset:20520
	ds_read_b64 v[6:7], v110 offset:11880
	global_load_dwordx2 v[0:1], v[0:1], off offset:2832
	s_waitcnt lgkmcnt(0)
	v_pk_add_f32 v[8:9], v[6:7], v[2:3] neg_lo:[0,1] neg_hi:[0,1]
	v_pk_add_f32 v[2:3], v[6:7], v[2:3]
	v_mov_b32_e32 v6, v8
	v_mov_b32_e32 v7, v3
	v_mov_b32_e32 v14, v2
	v_mov_b32_e32 v15, v9
	s_waitcnt vmcnt(3)
	v_pk_mul_f32 v[16:17], v[6:7], v[20:21] op_sel:[0,1]
	v_pk_fma_f32 v[6:7], v[6:7], v[20:21], v[14:15] op_sel:[0,1,0]
	v_mov_b32_e32 v14, v3
	v_mov_b32_e32 v15, v8
	v_mov_b32_e32 v3, v17
	v_mov_b32_e32 v17, v9
	v_pk_fma_f32 v[18:19], v[20:21], v[14:15], v[6:7] neg_lo:[1,0,0] neg_hi:[1,0,0]
	v_pk_fma_f32 v[6:7], v[20:21], v[14:15], v[6:7] op_sel_hi:[0,1,1]
	v_pk_add_f32 v[2:3], v[2:3], v[16:17] neg_lo:[0,1] neg_hi:[0,1]
	v_mov_b32_e32 v19, v7
	v_pk_fma_f32 v[2:3], v[20:21], v[14:15], v[2:3] op_sel_hi:[0,1,1]
	ds_write_b64 v110, v[18:19] offset:11880
	ds_write_b64 v4, v[2:3] offset:20520
	ds_read_b64 v[2:3], v4 offset:19440
	ds_read_b64 v[6:7], v110 offset:12960
	s_waitcnt lgkmcnt(0)
	v_pk_add_f32 v[8:9], v[6:7], v[2:3] neg_lo:[0,1] neg_hi:[0,1]
	v_pk_add_f32 v[2:3], v[6:7], v[2:3]
	v_mov_b32_e32 v6, v8
	v_mov_b32_e32 v7, v3
	v_mov_b32_e32 v14, v2
	v_mov_b32_e32 v15, v9
	s_waitcnt vmcnt(2)
	v_pk_mul_f32 v[16:17], v[6:7], v[12:13] op_sel:[0,1]
	v_pk_fma_f32 v[6:7], v[6:7], v[12:13], v[14:15] op_sel:[0,1,0]
	v_mov_b32_e32 v14, v3
	v_mov_b32_e32 v15, v8
	v_mov_b32_e32 v3, v17
	v_mov_b32_e32 v17, v9
	v_pk_fma_f32 v[18:19], v[12:13], v[14:15], v[6:7] neg_lo:[1,0,0] neg_hi:[1,0,0]
	v_pk_fma_f32 v[6:7], v[12:13], v[14:15], v[6:7] op_sel_hi:[0,1,1]
	v_pk_add_f32 v[2:3], v[2:3], v[16:17] neg_lo:[0,1] neg_hi:[0,1]
	v_mov_b32_e32 v19, v7
	v_pk_fma_f32 v[2:3], v[12:13], v[14:15], v[2:3] op_sel_hi:[0,1,1]
	ds_write_b64 v110, v[18:19] offset:12960
	ds_write_b64 v4, v[2:3] offset:19440
	ds_read_b64 v[2:3], v4 offset:18360
	ds_read_b64 v[6:7], v110 offset:14040
	;; [unrolled: 23-line block ×3, first 2 shown]
	s_waitcnt lgkmcnt(0)
	v_pk_add_f32 v[8:9], v[6:7], v[2:3] neg_lo:[0,1] neg_hi:[0,1]
	v_pk_add_f32 v[2:3], v[6:7], v[2:3]
	v_mov_b32_e32 v6, v8
	v_mov_b32_e32 v7, v3
	v_mov_b32_e32 v10, v2
	v_mov_b32_e32 v11, v9
	s_waitcnt vmcnt(0)
	v_pk_mul_f32 v[12:13], v[6:7], v[0:1] op_sel:[0,1]
	v_pk_fma_f32 v[6:7], v[6:7], v[0:1], v[10:11] op_sel:[0,1,0]
	v_mov_b32_e32 v10, v3
	v_mov_b32_e32 v11, v8
	;; [unrolled: 1-line block ×4, first 2 shown]
	v_pk_fma_f32 v[14:15], v[0:1], v[10:11], v[6:7] neg_lo:[1,0,0] neg_hi:[1,0,0]
	v_pk_fma_f32 v[6:7], v[0:1], v[10:11], v[6:7] op_sel_hi:[0,1,1]
	v_pk_add_f32 v[2:3], v[2:3], v[12:13] neg_lo:[0,1] neg_hi:[0,1]
	v_mov_b32_e32 v15, v7
	v_pk_fma_f32 v[0:1], v[0:1], v[10:11], v[2:3] op_sel_hi:[0,1,1]
	ds_write_b64 v110, v[14:15] offset:15120
	ds_write_b64 v4, v[0:1] offset:17280
	s_waitcnt lgkmcnt(0)
	s_barrier
	s_barrier
	ds_read2_b64 v[24:27], v75 offset0:42 offset1:177
	ds_read2_b64 v[28:31], v117 offset0:84 offset1:219
	;; [unrolled: 1-line block ×4, first 2 shown]
	ds_read2_b64 v[20:23], v110 offset1:135
	s_waitcnt lgkmcnt(3)
	v_pk_add_f32 v[4:5], v[24:25], v[28:29] neg_lo:[0,1] neg_hi:[0,1]
	s_waitcnt lgkmcnt(2)
	v_pk_add_f32 v[0:1], v[28:29], v[32:33]
	s_waitcnt lgkmcnt(1)
	v_pk_add_f32 v[40:41], v[24:25], v[36:37] neg_lo:[0,1] neg_hi:[0,1]
	s_waitcnt lgkmcnt(0)
	v_pk_fma_f32 v[0:1], v[0:1], 0.5, v[20:21] op_sel_hi:[1,0,1] neg_lo:[1,0,0] neg_hi:[1,0,0]
	v_pk_mul_f32 v[2:3], v[40:41], s[2:3] op_sel_hi:[1,0]
	v_pk_add_f32 v[42:43], v[28:29], v[32:33] neg_lo:[0,1] neg_hi:[0,1]
	v_pk_add_f32 v[6:7], v[36:37], v[32:33] neg_lo:[0,1] neg_hi:[0,1]
	v_pk_add_f32 v[44:45], v[0:1], v[2:3] op_sel:[0,1] op_sel_hi:[1,0] neg_lo:[0,1] neg_hi:[0,1]
	v_pk_add_f32 v[76:77], v[4:5], v[6:7]
	v_pk_add_f32 v[0:1], v[0:1], v[2:3] op_sel:[0,1] op_sel_hi:[1,0]
	v_pk_mul_f32 v[2:3], v[42:43], s[6:7] op_sel_hi:[1,0]
	ds_read2_b64 v[4:7], v121 offset0:56 offset1:191
	ds_read2_b64 v[8:11], v116 offset0:98 offset1:233
	;; [unrolled: 1-line block ×4, first 2 shown]
	v_pk_add_f32 v[78:79], v[0:1], v[2:3] op_sel:[0,1] op_sel_hi:[1,0]
	v_add_u32_e32 v0, 0x800, v110
	v_pk_add_f32 v[80:81], v[44:45], v[2:3] op_sel:[0,1] op_sel_hi:[1,0] neg_lo:[0,1] neg_hi:[0,1]
	ds_read2_b64 v[0:3], v0 offset0:14 offset1:149
	s_waitcnt lgkmcnt(3)
	v_pk_add_f32 v[44:45], v[6:7], v[10:11] neg_lo:[0,1] neg_hi:[0,1]
	s_waitcnt lgkmcnt(1)
	v_pk_add_f32 v[46:47], v[18:19], v[14:15] neg_lo:[0,1] neg_hi:[0,1]
	v_pk_add_f32 v[86:87], v[6:7], v[18:19] neg_lo:[0,1] neg_hi:[0,1]
	v_pk_add_f32 v[82:83], v[44:45], v[46:47]
	v_pk_add_f32 v[44:45], v[10:11], v[14:15]
	v_pk_mul_f32 v[46:47], v[86:87], s[2:3] op_sel_hi:[1,0]
	s_waitcnt lgkmcnt(0)
	v_pk_fma_f32 v[44:45], v[44:45], 0.5, v[2:3] op_sel_hi:[1,0,1] neg_lo:[1,0,0] neg_hi:[1,0,0]
	v_pk_add_f32 v[88:89], v[10:11], v[14:15] neg_lo:[0,1] neg_hi:[0,1]
	v_pk_add_f32 v[48:49], v[44:45], v[46:47] op_sel:[0,1] op_sel_hi:[1,0]
	v_pk_add_f32 v[44:45], v[44:45], v[46:47] op_sel:[0,1] op_sel_hi:[1,0] neg_lo:[0,1] neg_hi:[0,1]
	v_pk_mul_f32 v[46:47], v[88:89], s[6:7] op_sel_hi:[1,0]
	v_pk_mul_f32 v[94:95], v[42:43], s[2:3] op_sel_hi:[1,0]
	v_pk_add_f32 v[48:49], v[46:47], v[48:49] op_sel:[1,0] op_sel_hi:[0,1]
	v_pk_add_f32 v[84:85], v[44:45], v[46:47] op_sel:[0,1] op_sel_hi:[1,0] neg_lo:[0,1] neg_hi:[0,1]
	v_pk_add_f32 v[44:45], v[26:27], v[30:31] neg_lo:[0,1] neg_hi:[0,1]
	v_pk_add_f32 v[46:47], v[38:39], v[34:35] neg_lo:[0,1] neg_hi:[0,1]
	s_mov_b32 s3, s8
	v_pk_add_f32 v[42:43], v[30:31], v[34:35]
	v_pk_add_f32 v[106:107], v[26:27], v[38:39] neg_lo:[0,1] neg_hi:[0,1]
	v_pk_add_f32 v[102:103], v[44:45], v[46:47]
	v_pk_fma_f32 v[42:43], v[42:43], 0.5, v[22:23] op_sel_hi:[1,0,1] neg_lo:[1,0,0] neg_hi:[1,0,0]
	v_pk_mul_f32 v[44:45], v[106:107], s[2:3] op_sel_hi:[1,0]
	v_pk_fma_f32 v[92:93], v[82:83], s[8:9], v[48:49] op_sel_hi:[1,0,1]
	v_pk_add_f32 v[56:57], v[42:43], v[44:45] op_sel:[0,1] op_sel_hi:[1,0] neg_lo:[0,1] neg_hi:[0,1]
	v_pk_add_f32 v[50:51], v[42:43], v[44:45] op_sel:[0,1] op_sel_hi:[1,0]
	v_mov_b32_e32 v42, v80
	v_mov_b32_e32 v43, v79
	v_pk_fma_f32 v[90:91], v[76:77], s[8:9], v[42:43] op_sel_hi:[1,0,1]
	s_mov_b32 s9, s6
	v_mov_b32_e32 v48, v84
	v_pk_fma_f32 v[98:99], v[82:83], s[8:9], v[48:49] op_sel_hi:[1,0,1]
	v_pk_mul_f32 v[96:97], v[40:41], s[6:7] op_sel_hi:[1,0]
	v_pk_mul_f32 v[100:101], v[98:99], s[6:7] op_sel_hi:[1,0]
	s_mov_b32 s7, s10
	v_pk_add_f32 v[122:123], v[30:31], v[34:35] neg_lo:[0,1] neg_hi:[0,1]
	v_add_u32_e32 v80, 0x4000, v110
	v_pk_mul_f32 v[58:59], v[122:123], s[6:7] op_sel_hi:[1,0]
	ds_read2_b64 v[44:47], v118 offset0:70 offset1:205
	ds_read2_b64 v[40:43], v80 offset0:112 offset1:247
	v_pk_add_f32 v[104:105], v[50:51], v[58:59] op_sel:[0,1] op_sel_hi:[1,0]
	ds_read2_b64 v[52:55], v120 offset0:26 offset1:161
	ds_read2_b64 v[48:51], v119 offset0:68 offset1:203
	v_pk_add_f32 v[108:109], v[56:57], v[58:59] op_sel:[0,1] op_sel_hi:[1,0] neg_lo:[0,1] neg_hi:[0,1]
	v_add_u32_e32 v56, 0x1000, v110
	ds_read2_b64 v[56:59], v56 offset0:28 offset1:163
	s_waitcnt lgkmcnt(3)
	v_pk_add_f32 v[124:125], v[44:45], v[40:41] neg_lo:[0,1] neg_hi:[0,1]
	s_waitcnt lgkmcnt(1)
	v_pk_add_f32 v[126:127], v[48:49], v[52:53] neg_lo:[0,1] neg_hi:[0,1]
	v_pk_add_f32 v[128:129], v[44:45], v[48:49] neg_lo:[0,1] neg_hi:[0,1]
	v_pk_add_f32 v[124:125], v[124:125], v[126:127]
	v_pk_add_f32 v[126:127], v[40:41], v[52:53]
	v_pk_mul_f32 v[130:131], v[128:129], s[2:3] op_sel_hi:[1,0]
	s_waitcnt lgkmcnt(0)
	v_pk_fma_f32 v[126:127], v[126:127], 0.5, v[56:57] op_sel_hi:[1,0,1] neg_lo:[1,0,0] neg_hi:[1,0,0]
	v_mov_b32_e32 v140, v108
	v_pk_add_f32 v[132:133], v[126:127], v[130:131] op_sel:[0,1] op_sel_hi:[1,0]
	v_pk_add_f32 v[126:127], v[126:127], v[130:131] op_sel:[0,1] op_sel_hi:[1,0] neg_lo:[0,1] neg_hi:[0,1]
	v_pk_add_f32 v[130:131], v[40:41], v[52:53] neg_lo:[0,1] neg_hi:[0,1]
	v_mov_b32_e32 v141, v105
	v_pk_mul_f32 v[134:135], v[130:131], s[6:7] op_sel_hi:[1,0]
	v_pk_fma_f32 v[140:141], v[102:103], s[8:9], v[140:141] op_sel_hi:[1,0,1]
	v_pk_add_f32 v[132:133], v[134:135], v[132:133] op_sel:[1,0] op_sel_hi:[0,1]
	v_pk_add_f32 v[126:127], v[126:127], v[134:135] op_sel:[0,1] op_sel_hi:[1,0] neg_lo:[0,1] neg_hi:[0,1]
	v_pk_fma_f32 v[134:135], v[124:125], s[8:9], v[132:133] op_sel_hi:[1,0,1]
	v_mov_b32_e32 v132, v126
	v_pk_fma_f32 v[132:133], v[124:125], s[8:9], v[132:133] op_sel_hi:[1,0,1]
	v_mad_u32_u24 v108, v62, s12, v110
	v_pk_mul_f32 v[136:137], v[132:133], s[6:7] op_sel_hi:[1,0]
	v_add_u32_e32 v79, 0x2a30, v108
	v_pk_fma_f32 v[138:139], v[132:133], s[10:11], v[136:137] op_sel:[0,0,1] op_sel_hi:[1,0,0] neg_lo:[0,0,1] neg_hi:[0,0,1]
	v_pk_fma_f32 v[132:133], v[132:133], s[10:11], v[136:137] op_sel:[0,0,1] op_sel_hi:[1,0,0]
	v_pk_add_f32 v[136:137], v[56:57], v[44:45]
	v_mov_b32_e32 v139, v133
	v_pk_add_f32 v[132:133], v[22:23], v[26:27]
	v_pk_add_f32 v[136:137], v[136:137], v[40:41]
	;; [unrolled: 1-line block ×9, first 2 shown]
	s_barrier
	ds_write2_b64 v79, v[142:143], v[144:145] offset1:1
	v_mov_b32_e32 v142, v40
	v_mov_b32_e32 v143, v52
	v_mov_b32_e32 v144, v44
	v_mov_b32_e32 v145, v48
	v_pk_add_f32 v[142:143], v[142:143], v[144:145] neg_lo:[0,1] neg_hi:[0,1]
	v_mov_b32_e32 v52, v45
	v_mov_b32_e32 v40, v143
	v_pk_add_f32 v[142:143], v[142:143], v[40:41]
	v_mov_b32_e32 v40, v41
	v_mov_b32_e32 v41, v53
	v_mov_b32_e32 v53, v49
	v_pk_add_f32 v[40:41], v[40:41], v[52:53] neg_lo:[0,1] neg_hi:[0,1]
	v_pk_add_f32 v[30:31], v[30:31], v[26:27] neg_lo:[0,1] neg_hi:[0,1]
	v_pk_add_f32 v[26:27], v[26:27], v[38:39]
	v_mov_b32_e32 v52, v41
	v_pk_add_f32 v[44:45], v[44:45], v[48:49]
	v_pk_add_f32 v[34:35], v[34:35], v[38:39] neg_lo:[0,1] neg_hi:[0,1]
	v_pk_fma_f32 v[22:23], v[26:27], 0.5, v[22:23] op_sel_hi:[1,0,1] neg_lo:[1,0,0] neg_hi:[1,0,0]
	v_pk_mul_f32 v[26:27], v[122:123], s[2:3] op_sel_hi:[1,0]
	v_pk_add_f32 v[40:41], v[40:41], v[52:53]
	v_mov_b32_e32 v143, v129
	v_fma_f32 v52, -0.5, v44, v56
	v_pk_add_f32 v[30:31], v[30:31], v[34:35]
	v_pk_add_f32 v[34:35], v[22:23], v[26:27] op_sel:[0,1] op_sel_hi:[1,0]
	v_pk_add_f32 v[22:23], v[22:23], v[26:27] op_sel:[0,1] op_sel_hi:[1,0] neg_lo:[0,1] neg_hi:[0,1]
	v_pk_mul_f32 v[26:27], v[106:107], s[6:7] op_sel_hi:[1,0]
	v_mov_b32_e32 v41, v128
	v_fma_f32 v45, -0.5, v45, v57
	v_fmamk_f32 v44, v131, 0x3f737871, v52
	v_fmac_f32_e32 v52, 0xbf737871, v131
	v_pk_add_f32 v[22:23], v[22:23], v[26:27] op_sel:[0,1] op_sel_hi:[1,0]
	v_pk_add_f32 v[26:27], v[34:35], v[26:27] op_sel:[0,1] op_sel_hi:[1,0] neg_lo:[0,1] neg_hi:[0,1]
	v_pk_mul_f32 v[34:35], v[142:143], s[8:9]
	v_fmamk_f32 v48, v130, 0xbf737871, v45
	v_fmac_f32_e32 v45, 0x3f737871, v130
	v_sub_f32_e32 v44, v44, v35
	v_pk_mul_f32 v[38:39], v[40:41], s[8:9]
	v_add_f32_e32 v35, v35, v52
	v_add_f32_e32 v40, v39, v48
	;; [unrolled: 1-line block ×4, first 2 shown]
	v_sub_f32_e32 v35, v45, v39
	v_add_f32_e32 v40, v38, v40
	v_add_f32_e32 v38, v38, v35
	s_mov_b32 s12, s8
	v_pk_mul_f32 v[40:41], v[40:41], s[2:3] op_sel_hi:[0,1]
	v_pk_mul_f32 v[38:39], v[38:39], s[2:3] op_sel_hi:[0,1]
	v_pk_fma_f32 v[48:49], v[44:45], s[12:13], v[40:41] neg_lo:[0,0,1] neg_hi:[0,0,1]
	v_pk_fma_f32 v[40:41], v[44:45], s[12:13], v[40:41] op_sel_hi:[0,1,1]
	v_pk_fma_f32 v[34:35], v[34:35], s[16:17], v[38:39] op_sel_hi:[0,1,1] neg_lo:[0,0,1] neg_hi:[0,0,1]
	v_mov_b32_e32 v38, v26
	v_mov_b32_e32 v39, v23
	;; [unrolled: 1-line block ×4, first 2 shown]
	v_pk_fma_f32 v[26:27], v[30:31], s[8:9], v[38:39] op_sel_hi:[1,0,1]
	v_pk_fma_f32 v[22:23], v[30:31], s[8:9], v[22:23] op_sel_hi:[1,0,1]
	v_add_u32_e32 v40, 0x2a40, v108
	v_pk_add_f32 v[30:31], v[26:27], v[48:49]
	v_pk_add_f32 v[38:39], v[22:23], v[34:35]
	ds_write2_b64 v40, v[30:31], v[38:39] offset1:1
	v_pk_fma_f32 v[30:31], v[124:125], s[8:9], v[126:127] op_sel_hi:[1,0,1]
	v_mov_b32_e32 v105, v109
	v_pk_mul_f32 v[30:31], v[30:31], s[6:7] op_sel:[1,0]
	v_pk_fma_f32 v[38:39], v[102:103], s[8:9], v[104:105] op_sel_hi:[1,0,1]
	v_pk_fma_f32 v[30:31], v[134:135], s[14:15], v[30:31] op_sel_hi:[0,1,1] neg_lo:[0,0,1] neg_hi:[0,0,1]
	v_pk_add_f32 v[40:41], v[132:133], v[136:137] neg_lo:[0,1] neg_hi:[0,1]
	v_add_u32_e32 v52, 0x2a50, v108
	v_pk_add_f32 v[44:45], v[38:39], v[30:31]
	ds_write2_b64 v52, v[44:45], v[40:41] offset1:1
	v_pk_add_f32 v[40:41], v[140:141], v[138:139] neg_lo:[0,1] neg_hi:[0,1]
	v_pk_add_f32 v[26:27], v[26:27], v[48:49] neg_lo:[0,1] neg_hi:[0,1]
	v_add_u32_e32 v44, 0x2a60, v108
	ds_write2_b64 v44, v[40:41], v[26:27] offset1:1
	v_pk_add_f32 v[26:27], v[20:21], v[24:25]
	v_mov_b32_e32 v79, v81
	v_pk_add_f32 v[26:27], v[26:27], v[28:29]
	v_pk_add_f32 v[28:29], v[28:29], v[24:25] neg_lo:[0,1] neg_hi:[0,1]
	v_pk_add_f32 v[24:25], v[24:25], v[36:37]
	v_pk_add_f32 v[26:27], v[26:27], v[32:33]
	v_pk_add_f32 v[32:33], v[32:33], v[36:37] neg_lo:[0,1] neg_hi:[0,1]
	v_pk_add_f32 v[26:27], v[26:27], v[36:37]
	v_pk_fma_f32 v[20:21], v[24:25], 0.5, v[20:21] op_sel_hi:[1,0,1] neg_lo:[1,0,0] neg_hi:[1,0,0]
	v_pk_fma_f32 v[24:25], v[98:99], s[10:11], v[100:101] op_sel:[0,0,1] op_sel_hi:[1,0,0] neg_lo:[0,0,1] neg_hi:[0,0,1]
	v_pk_fma_f32 v[36:37], v[98:99], s[10:11], v[100:101] op_sel:[0,0,1] op_sel_hi:[1,0,0]
	s_nop 0
	v_mov_b32_e32 v25, v37
	v_pk_add_f32 v[36:37], v[2:3], v[6:7]
	v_pk_add_f32 v[44:45], v[90:91], v[24:25]
	;; [unrolled: 1-line block ×3, first 2 shown]
	s_nop 0
	v_pk_add_f32 v[36:37], v[36:37], v[14:15]
	s_nop 0
	v_pk_add_f32 v[36:37], v[36:37], v[18:19]
	;; [unrolled: 2-line block ×3, first 2 shown]
	ds_write2_b64 v108, v[40:41], v[44:45] offset1:1
	v_mov_b32_e32 v40, v10
	v_mov_b32_e32 v41, v14
	;; [unrolled: 1-line block ×4, first 2 shown]
	v_pk_add_f32 v[40:41], v[40:41], v[44:45] neg_lo:[0,1] neg_hi:[0,1]
	v_mov_b32_e32 v14, v7
	v_mov_b32_e32 v10, v41
	v_pk_add_f32 v[40:41], v[40:41], v[10:11]
	v_mov_b32_e32 v10, v11
	v_mov_b32_e32 v11, v15
	;; [unrolled: 1-line block ×3, first 2 shown]
	v_pk_add_f32 v[10:11], v[10:11], v[14:15] neg_lo:[0,1] neg_hi:[0,1]
	v_pk_add_f32 v[6:7], v[6:7], v[18:19]
	v_mov_b32_e32 v14, v11
	v_pk_add_f32 v[10:11], v[10:11], v[14:15]
	v_fma_f32 v45, -0.5, v7, v3
	v_mov_b32_e32 v11, v86
	v_mov_b32_e32 v41, v87
	v_fma_f32 v44, -0.5, v6, v2
	v_fmamk_f32 v49, v88, 0xbf737871, v45
	v_fmac_f32_e32 v45, 0x3f737871, v88
	v_pk_mul_f32 v[10:11], v[10:11], s[8:9]
	v_fmamk_f32 v48, v89, 0x3f737871, v44
	v_fmac_f32_e32 v44, 0xbf737871, v89
	v_pk_add_f32 v[6:7], v[20:21], v[94:95] op_sel:[0,1] op_sel_hi:[1,0]
	v_pk_add_f32 v[14:15], v[20:21], v[94:95] op_sel:[0,1] op_sel_hi:[1,0] neg_lo:[0,1] neg_hi:[0,1]
	v_pk_mul_f32 v[18:19], v[40:41], s[8:9]
	v_add_f32_e32 v20, v11, v49
	v_sub_f32_e32 v11, v45, v11
	v_pk_add_f32 v[2:3], v[28:29], v[32:33]
	v_sub_f32_e32 v28, v48, v19
	v_add_f32_e32 v20, v10, v20
	v_add_f32_e32 v19, v19, v44
	;; [unrolled: 1-line block ×3, first 2 shown]
	v_pk_add_f32 v[14:15], v[14:15], v[96:97] op_sel:[0,1] op_sel_hi:[1,0]
	v_pk_add_f32 v[6:7], v[6:7], v[96:97] op_sel:[0,1] op_sel_hi:[1,0] neg_lo:[0,1] neg_hi:[0,1]
	v_pk_mul_f32 v[20:21], v[20:21], s[2:3] op_sel_hi:[0,1]
	v_add_f32_e32 v28, v18, v28
	v_add_f32_e32 v18, v18, v19
	v_pk_mul_f32 v[10:11], v[10:11], s[2:3] op_sel_hi:[0,1]
	v_pk_fma_f32 v[32:33], v[28:29], s[12:13], v[20:21] neg_lo:[0,0,1] neg_hi:[0,0,1]
	v_pk_fma_f32 v[20:21], v[28:29], s[12:13], v[20:21] op_sel_hi:[0,1,1]
	v_pk_fma_f32 v[10:11], v[18:19], s[16:17], v[10:11] op_sel_hi:[0,1,1] neg_lo:[0,0,1] neg_hi:[0,0,1]
	v_mov_b32_e32 v18, v6
	v_mov_b32_e32 v19, v15
	;; [unrolled: 1-line block ×4, first 2 shown]
	v_pk_fma_f32 v[6:7], v[2:3], s[8:9], v[18:19] op_sel_hi:[1,0,1]
	v_pk_fma_f32 v[2:3], v[2:3], s[8:9], v[14:15] op_sel_hi:[1,0,1]
	v_pk_add_f32 v[14:15], v[6:7], v[32:33]
	v_pk_add_f32 v[18:19], v[2:3], v[10:11]
	ds_write2_b64 v108, v[14:15], v[18:19] offset0:2 offset1:3
	v_pk_fma_f32 v[14:15], v[82:83], s[8:9], v[84:85] op_sel_hi:[1,0,1]
	v_pk_fma_f32 v[18:19], v[76:77], s[8:9], v[78:79] op_sel_hi:[1,0,1]
	v_pk_mul_f32 v[14:15], v[14:15], s[6:7] op_sel:[1,0]
	v_pk_add_f32 v[20:21], v[26:27], v[36:37] neg_lo:[0,1] neg_hi:[0,1]
	v_pk_fma_f32 v[14:15], v[92:93], s[14:15], v[14:15] op_sel_hi:[0,1,1] neg_lo:[0,0,1] neg_hi:[0,0,1]
	v_pk_add_f32 v[26:27], v[18:19], v[14:15]
	ds_write2_b64 v108, v[26:27], v[20:21] offset0:4 offset1:5
	v_pk_add_f32 v[20:21], v[90:91], v[24:25] neg_lo:[0,1] neg_hi:[0,1]
	v_pk_add_f32 v[6:7], v[6:7], v[32:33] neg_lo:[0,1] neg_hi:[0,1]
	ds_write2_b64 v108, v[20:21], v[6:7] offset0:6 offset1:7
	v_pk_add_f32 v[2:3], v[2:3], v[10:11] neg_lo:[0,1] neg_hi:[0,1]
	v_pk_add_f32 v[6:7], v[18:19], v[14:15] neg_lo:[0,1] neg_hi:[0,1]
	;; [unrolled: 3-line block ×3, first 2 shown]
	v_add_u32_e32 v10, 0x2a70, v108
	ds_write2_b64 v10, v[2:3], v[6:7] offset1:1
	v_pk_add_f32 v[2:3], v[0:1], v[4:5]
	v_pk_add_f32 v[6:7], v[8:9], v[12:13]
	;; [unrolled: 1-line block ×3, first 2 shown]
	v_pk_add_f32 v[14:15], v[4:5], v[8:9] neg_lo:[0,1] neg_hi:[0,1]
	v_pk_add_f32 v[18:19], v[4:5], v[16:17] neg_lo:[0,1] neg_hi:[0,1]
	v_pk_add_f32 v[2:3], v[2:3], v[12:13]
	v_pk_add_f32 v[20:21], v[16:17], v[12:13] neg_lo:[0,1] neg_hi:[0,1]
	v_pk_add_f32 v[10:11], v[8:9], v[12:13] neg_lo:[0,1] neg_hi:[0,1]
	;; [unrolled: 1-line block ×3, first 2 shown]
	v_pk_add_f32 v[4:5], v[4:5], v[16:17]
	v_pk_add_f32 v[12:13], v[12:13], v[16:17] neg_lo:[0,1] neg_hi:[0,1]
	v_pk_add_f32 v[2:3], v[2:3], v[16:17]
	v_pk_add_f32 v[16:17], v[46:47], v[50:51]
	;; [unrolled: 1-line block ×4, first 2 shown]
	v_pk_fma_f32 v[6:7], v[6:7], 0.5, v[0:1] op_sel_hi:[1,0,1] neg_lo:[1,0,0] neg_hi:[1,0,0]
	v_pk_mul_f32 v[20:21], v[18:19], s[2:3] op_sel_hi:[1,0]
	v_pk_add_f32 v[28:29], v[46:47], v[50:51] neg_lo:[0,1] neg_hi:[0,1]
	v_fma_f32 v48, -0.5, v16, v58
	v_fma_f32 v49, -0.5, v17, v59
	v_pk_fma_f32 v[16:17], v[36:37], 0.5, v[58:59] op_sel_hi:[1,0,1] neg_lo:[1,0,0] neg_hi:[1,0,0]
	v_pk_add_f32 v[36:37], v[6:7], v[20:21] op_sel:[0,1] op_sel_hi:[1,0] neg_lo:[0,1] neg_hi:[0,1]
	v_pk_add_f32 v[6:7], v[6:7], v[20:21] op_sel:[0,1] op_sel_hi:[1,0]
	v_pk_mul_f32 v[20:21], v[10:11], s[6:7] op_sel_hi:[1,0]
	v_pk_add_f32 v[30:31], v[46:47], v[42:43] neg_lo:[0,1] neg_hi:[0,1]
	v_pk_add_f32 v[38:39], v[42:43], v[54:55] neg_lo:[0,1] neg_hi:[0,1]
	;; [unrolled: 1-line block ×3, first 2 shown]
	v_pk_add_f32 v[6:7], v[6:7], v[20:21] op_sel:[0,1] op_sel_hi:[1,0]
	v_pk_add_f32 v[20:21], v[36:37], v[20:21] op_sel:[0,1] op_sel_hi:[1,0] neg_lo:[0,1] neg_hi:[0,1]
	v_pk_mul_f32 v[36:37], v[28:29], s[2:3] op_sel_hi:[1,0]
	v_pk_add_f32 v[30:31], v[30:31], v[40:41]
	v_pk_add_f32 v[40:41], v[16:17], v[36:37] op_sel:[0,1] op_sel_hi:[1,0]
	v_pk_add_f32 v[16:17], v[16:17], v[36:37] op_sel:[0,1] op_sel_hi:[1,0] neg_lo:[0,1] neg_hi:[0,1]
	v_pk_mul_f32 v[36:37], v[38:39], s[6:7] op_sel_hi:[1,0]
	v_pk_add_f32 v[24:25], v[58:59], v[46:47]
	v_pk_add_f32 v[40:41], v[36:37], v[40:41] op_sel:[1,0] op_sel_hi:[0,1]
	v_pk_add_f32 v[16:17], v[16:17], v[36:37] op_sel:[0,1] op_sel_hi:[1,0] neg_lo:[0,1] neg_hi:[0,1]
	v_pk_fma_f32 v[36:37], v[30:31], s[8:9], v[40:41] op_sel_hi:[1,0,1]
	v_mov_b32_e32 v40, v16
	v_pk_fma_f32 v[40:41], v[30:31], s[8:9], v[40:41] op_sel_hi:[1,0,1]
	v_pk_add_f32 v[24:25], v[24:25], v[42:43]
	v_mov_b32_e32 v32, v42
	v_mov_b32_e32 v34, v43
	v_pk_mul_f32 v[42:43], v[40:41], s[6:7] op_sel_hi:[1,0]
	v_mov_b32_e32 v22, v46
	v_mov_b32_e32 v33, v54
	;; [unrolled: 1-line block ×3, first 2 shown]
	v_pk_fma_f32 v[44:45], v[40:41], s[10:11], v[42:43] op_sel:[0,0,1] op_sel_hi:[1,0,0] neg_lo:[0,0,1] neg_hi:[0,0,1]
	v_pk_fma_f32 v[40:41], v[40:41], s[10:11], v[42:43] op_sel:[0,0,1] op_sel_hi:[1,0,0]
	v_mov_b32_e32 v26, v47
	v_pk_add_f32 v[24:25], v[24:25], v[54:55]
	v_mov_b32_e32 v35, v55
	v_mov_b32_e32 v27, v51
	v_mul_u32_u24_e32 v40, 10, v64
	v_pk_fma_f32 v[0:1], v[4:5], 0.5, v[0:1] op_sel_hi:[1,0,1] neg_lo:[1,0,0] neg_hi:[1,0,0]
	v_pk_add_f32 v[4:5], v[32:33], v[22:23] neg_lo:[0,1] neg_hi:[0,1]
	v_pk_add_f32 v[24:25], v[24:25], v[50:51]
	v_lshl_add_u32 v50, v40, 3, 0
	v_mov_b32_e32 v40, v20
	v_mov_b32_e32 v20, v5
	v_pk_add_f32 v[22:23], v[34:35], v[26:27] neg_lo:[0,1] neg_hi:[0,1]
	v_pk_add_f32 v[4:5], v[4:5], v[20:21]
	v_mov_b32_e32 v20, v23
	v_pk_add_f32 v[22:23], v[22:23], v[20:21]
	v_mov_b32_e32 v5, v29
	v_pk_mul_f32 v[10:11], v[10:11], s[2:3] op_sel_hi:[1,0]
	v_mov_b32_e32 v45, v41
	v_mov_b32_e32 v41, v7
	;; [unrolled: 1-line block ×3, first 2 shown]
	v_fmamk_f32 v7, v39, 0x3f737871, v48
	v_fmac_f32_e32 v48, 0xbf737871, v39
	v_pk_add_f32 v[8:9], v[8:9], v[12:13]
	v_pk_add_f32 v[12:13], v[0:1], v[10:11] op_sel:[0,1] op_sel_hi:[1,0]
	v_pk_add_f32 v[0:1], v[0:1], v[10:11] op_sel:[0,1] op_sel_hi:[1,0] neg_lo:[0,1] neg_hi:[0,1]
	v_pk_mul_f32 v[10:11], v[18:19], s[6:7] op_sel_hi:[1,0]
	v_pk_mul_f32 v[4:5], v[4:5], s[8:9]
	v_fmamk_f32 v20, v38, 0xbf737871, v49
	v_fmac_f32_e32 v49, 0x3f737871, v38
	v_pk_add_f32 v[0:1], v[0:1], v[10:11] op_sel:[0,1] op_sel_hi:[1,0]
	v_pk_add_f32 v[10:11], v[12:13], v[10:11] op_sel:[0,1] op_sel_hi:[1,0] neg_lo:[0,1] neg_hi:[0,1]
	v_sub_f32_e32 v7, v7, v5
	v_pk_mul_f32 v[12:13], v[22:23], s[8:9]
	v_add_f32_e32 v5, v5, v48
	v_add_f32_e32 v18, v13, v20
	;; [unrolled: 1-line block ×4, first 2 shown]
	v_sub_f32_e32 v5, v49, v13
	v_add_f32_e32 v18, v12, v18
	v_add_f32_e32 v12, v12, v5
	v_pk_mul_f32 v[18:19], v[18:19], s[2:3] op_sel_hi:[0,1]
	v_pk_mul_f32 v[12:13], v[12:13], s[2:3] op_sel_hi:[0,1]
	v_pk_fma_f32 v[22:23], v[20:21], s[12:13], v[18:19] neg_lo:[0,0,1] neg_hi:[0,0,1]
	v_pk_fma_f32 v[18:19], v[20:21], s[12:13], v[18:19] op_sel_hi:[0,1,1]
	v_pk_fma_f32 v[4:5], v[4:5], s[16:17], v[12:13] op_sel_hi:[0,1,1] neg_lo:[0,0,1] neg_hi:[0,0,1]
	v_mov_b32_e32 v12, v10
	v_mov_b32_e32 v13, v1
	;; [unrolled: 1-line block ×4, first 2 shown]
	v_pk_fma_f32 v[10:11], v[8:9], s[8:9], v[12:13] op_sel_hi:[1,0,1]
	v_pk_fma_f32 v[0:1], v[8:9], s[8:9], v[0:1] op_sel_hi:[1,0,1]
	v_pk_add_f32 v[8:9], v[10:11], v[22:23]
	v_pk_add_f32 v[12:13], v[0:1], v[4:5]
	ds_write2_b64 v50, v[8:9], v[12:13] offset0:2 offset1:3
	v_pk_fma_f32 v[8:9], v[30:31], s[8:9], v[16:17] op_sel_hi:[1,0,1]
	v_mov_b32_e32 v7, v21
	v_pk_mul_f32 v[8:9], v[8:9], s[6:7] op_sel:[1,0]
	v_pk_fma_f32 v[6:7], v[14:15], s[8:9], v[6:7] op_sel_hi:[1,0,1]
	v_pk_fma_f32 v[8:9], v[36:37], s[14:15], v[8:9] op_sel_hi:[0,1,1] neg_lo:[0,0,1] neg_hi:[0,0,1]
	v_pk_fma_f32 v[40:41], v[14:15], s[8:9], v[40:41] op_sel_hi:[1,0,1]
	v_pk_add_f32 v[42:43], v[2:3], v[24:25]
	v_pk_add_f32 v[12:13], v[6:7], v[8:9]
	v_pk_add_f32 v[2:3], v[2:3], v[24:25] neg_lo:[0,1] neg_hi:[0,1]
	ds_write2_b64 v50, v[12:13], v[2:3] offset0:4 offset1:5
	v_pk_add_f32 v[2:3], v[40:41], v[44:45] neg_lo:[0,1] neg_hi:[0,1]
	v_pk_add_f32 v[10:11], v[10:11], v[22:23] neg_lo:[0,1] neg_hi:[0,1]
	ds_write2_b64 v50, v[2:3], v[10:11] offset0:6 offset1:7
	v_pk_add_f32 v[0:1], v[0:1], v[4:5] neg_lo:[0,1] neg_hi:[0,1]
	v_pk_add_f32 v[2:3], v[6:7], v[8:9] neg_lo:[0,1] neg_hi:[0,1]
	s_mov_b32 s3, 0xcccd
	ds_write2_b64 v50, v[0:1], v[2:3] offset0:8 offset1:9
	v_mul_u32_u24_sdwa v0, v66, s3 dst_sel:DWORD dst_unused:UNUSED_PAD src0_sel:WORD_0 src1_sel:DWORD
	v_lshrrev_b32_e32 v48, 19, v0
	v_pk_add_f32 v[46:47], v[40:41], v[44:45]
	v_mul_lo_u16_e32 v0, 10, v48
	ds_write2_b64 v50, v[42:43], v[46:47] offset1:1
	v_sub_u16_e32 v47, v66, v0
	v_lshlrev_b32_e32 v16, 5, v47
	s_waitcnt lgkmcnt(0)
	s_barrier
	global_load_dwordx4 v[0:3], v16, s[4:5]
	v_mul_u32_u24_sdwa v4, v74, s3 dst_sel:DWORD dst_unused:UNUSED_PAD src0_sel:WORD_0 src1_sel:DWORD
	v_lshrrev_b32_e32 v49, 19, v4
	v_mul_lo_u16_e32 v4, 10, v49
	v_sub_u16_e32 v50, v74, v4
	v_lshlrev_b32_e32 v17, 5, v50
	global_load_dwordx4 v[4:7], v17, s[4:5]
	global_load_dwordx4 v[8:11], v16, s[4:5] offset:16
	global_load_dwordx4 v[12:15], v17, s[4:5] offset:16
	v_mul_u32_u24_sdwa v16, v68, s3 dst_sel:DWORD dst_unused:UNUSED_PAD src0_sel:WORD_0 src1_sel:DWORD
	v_lshrrev_b32_e32 v81, 19, v16
	v_mul_lo_u16_e32 v16, 10, v81
	v_sub_u16_e32 v51, v68, v16
	v_lshlrev_b32_e32 v20, 5, v51
	v_mul_u32_u24_sdwa v21, v64, s3 dst_sel:DWORD dst_unused:UNUSED_PAD src0_sel:WORD_0 src1_sel:DWORD
	global_load_dwordx4 v[16:19], v20, s[4:5]
	v_lshrrev_b32_e32 v150, 19, v21
	v_mul_lo_u16_e32 v21, 10, v150
	v_sub_u16_e32 v151, v64, v21
	v_lshlrev_b32_e32 v21, 5, v151
	global_load_dwordx4 v[52:55], v21, s[4:5]
	global_load_dwordx4 v[56:59], v20, s[4:5] offset:16
	global_load_dwordx4 v[76:79], v21, s[4:5] offset:16
	v_add_u32_e32 v46, 0x87, v62
	v_mul_u32_u24_sdwa v20, v46, s3 dst_sel:DWORD dst_unused:UNUSED_PAD src0_sel:WORD_0 src1_sel:DWORD
	v_lshrrev_b32_e32 v152, 19, v20
	v_mul_lo_u16_e32 v20, 10, v152
	s_movk_i32 s3, 0xcd
	v_sub_u16_e32 v153, v46, v20
	v_mul_lo_u16_sdwa v20, v62, s3 dst_sel:DWORD dst_unused:UNUSED_PAD src0_sel:BYTE_0 src1_sel:DWORD
	v_lshrrev_b16_e32 v142, 11, v20
	v_lshlrev_b32_e32 v24, 5, v153
	v_mul_lo_u16_e32 v20, 10, v142
	global_load_dwordx4 v[82:85], v24, s[4:5]
	v_sub_u16_e32 v143, v62, v20
	v_mov_b32_e32 v20, 5
	v_lshlrev_b32_sdwa v26, v20, v143 dst_sel:DWORD dst_unused:UNUSED_PAD src0_sel:DWORD src1_sel:BYTE_0
	global_load_dwordx4 v[86:89], v26, s[4:5]
	ds_read2_b64 v[28:31], v118 offset0:70 offset1:205
	ds_read2_b64 v[32:35], v80 offset0:112 offset1:247
	global_load_dwordx4 v[90:93], v24, s[4:5] offset:16
	global_load_dwordx4 v[94:97], v26, s[4:5] offset:16
	ds_read2_b64 v[38:41], v119 offset0:68 offset1:203
	ds_read2_b64 v[98:101], v116 offset0:98 offset1:233
	s_waitcnt vmcnt(11) lgkmcnt(3)
	v_pk_mul_f32 v[22:23], v[30:31], v[0:1] op_sel:[0,1]
	s_nop 0
	v_pk_fma_f32 v[20:21], v[30:31], v[0:1], v[22:23] op_sel:[0,0,1] op_sel_hi:[1,1,0]
	v_pk_fma_f32 v[22:23], v[30:31], v[0:1], v[22:23] op_sel:[0,0,1] op_sel_hi:[1,0,0] neg_lo:[0,0,1] neg_hi:[0,0,1]
	v_mov_b32_e32 v0, v3
	s_waitcnt lgkmcnt(2)
	v_pk_mul_f32 v[24:25], v[34:35], v[0:1] op_sel_hi:[1,0]
	v_mov_b32_e32 v21, v23
	v_pk_fma_f32 v[0:1], v[34:35], v[2:3], v[24:25] op_sel:[0,0,1] op_sel_hi:[1,1,0]
	v_pk_fma_f32 v[24:25], v[34:35], v[2:3], v[24:25] op_sel:[0,0,1] op_sel_hi:[1,0,0] neg_lo:[0,0,1] neg_hi:[0,0,1]
	ds_read2_b64 v[34:37], v120 offset0:26 offset1:161
	s_waitcnt vmcnt(10)
	v_pk_mul_f32 v[2:3], v[28:29], v[4:5] op_sel:[0,1]
	v_mul_u32_u24_e32 v1, 0x190, v142
	v_pk_fma_f32 v[26:27], v[28:29], v[4:5], v[2:3] op_sel:[0,0,1] op_sel_hi:[1,1,0]
	v_pk_fma_f32 v[30:31], v[28:29], v[4:5], v[2:3] op_sel:[0,0,1] op_sel_hi:[1,0,0] neg_lo:[0,0,1] neg_hi:[0,0,1]
	v_mov_b32_e32 v2, v7
	v_pk_mul_f32 v[2:3], v[32:33], v[2:3] op_sel_hi:[1,0]
	s_waitcnt vmcnt(9) lgkmcnt(0)
	v_pk_mul_f32 v[4:5], v[36:37], v[8:9] op_sel:[0,1]
	v_pk_fma_f32 v[28:29], v[32:33], v[6:7], v[2:3] op_sel:[0,0,1] op_sel_hi:[1,1,0]
	v_pk_fma_f32 v[32:33], v[32:33], v[6:7], v[2:3] op_sel:[0,0,1] op_sel_hi:[1,0,0] neg_lo:[0,0,1] neg_hi:[0,0,1]
	v_pk_fma_f32 v[2:3], v[36:37], v[8:9], v[4:5] op_sel:[0,0,1] op_sel_hi:[1,1,0]
	v_pk_fma_f32 v[6:7], v[36:37], v[8:9], v[4:5] op_sel:[0,0,1] op_sel_hi:[1,0,0] neg_lo:[0,0,1] neg_hi:[0,0,1]
	v_mov_b32_e32 v4, v11
	v_pk_mul_f32 v[8:9], v[40:41], v[4:5] op_sel_hi:[1,0]
	s_waitcnt vmcnt(8)
	v_pk_mul_f32 v[36:37], v[34:35], v[12:13] op_sel:[0,1]
	v_pk_fma_f32 v[4:5], v[40:41], v[10:11], v[8:9] op_sel:[0,0,1] op_sel_hi:[1,1,0]
	v_pk_fma_f32 v[10:11], v[40:41], v[10:11], v[8:9] op_sel:[0,0,1] op_sel_hi:[1,0,0] neg_lo:[0,0,1] neg_hi:[0,0,1]
	ds_read2_b64 v[40:43], v121 offset0:56 offset1:191
	v_mov_b32_e32 v6, v15
	v_pk_fma_f32 v[8:9], v[34:35], v[12:13], v[36:37] op_sel:[0,0,1] op_sel_hi:[1,1,0]
	v_pk_fma_f32 v[34:35], v[34:35], v[12:13], v[36:37] op_sel:[0,0,1] op_sel_hi:[1,0,0] neg_lo:[0,0,1] neg_hi:[0,0,1]
	v_pk_mul_f32 v[36:37], v[38:39], v[6:7] op_sel_hi:[1,0]
	s_waitcnt vmcnt(7)
	v_mov_b32_e32 v6, v19
	v_pk_fma_f32 v[12:13], v[38:39], v[14:15], v[36:37] op_sel:[0,0,1] op_sel_hi:[1,1,0]
	v_pk_fma_f32 v[14:15], v[38:39], v[14:15], v[36:37] op_sel:[0,0,1] op_sel_hi:[1,0,0] neg_lo:[0,0,1] neg_hi:[0,0,1]
	s_waitcnt lgkmcnt(0)
	v_pk_mul_f32 v[38:39], v[42:43], v[16:17] op_sel:[0,1]
	v_mov_b32_e32 v14, 3
	v_pk_fma_f32 v[36:37], v[42:43], v[16:17], v[38:39] op_sel:[0,0,1] op_sel_hi:[1,1,0]
	v_pk_fma_f32 v[42:43], v[42:43], v[16:17], v[38:39] op_sel:[0,0,1] op_sel_hi:[1,0,0] neg_lo:[0,0,1] neg_hi:[0,0,1]
	v_pk_mul_f32 v[16:17], v[100:101], v[6:7] op_sel_hi:[1,0]
	s_waitcnt vmcnt(6)
	v_mov_b32_e32 v6, v55
	v_pk_fma_f32 v[38:39], v[100:101], v[18:19], v[16:17] op_sel:[0,0,1] op_sel_hi:[1,1,0]
	v_pk_fma_f32 v[44:45], v[100:101], v[18:19], v[16:17] op_sel:[0,0,1] op_sel_hi:[1,0,0] neg_lo:[0,0,1] neg_hi:[0,0,1]
	v_pk_mul_f32 v[16:17], v[40:41], v[52:53] op_sel:[0,1]
	ds_read2_b64 v[100:103], v113 offset0:12 offset1:147
	v_pk_fma_f32 v[104:105], v[40:41], v[52:53], v[16:17] op_sel:[0,0,1] op_sel_hi:[1,1,0]
	v_pk_fma_f32 v[106:107], v[40:41], v[52:53], v[16:17] op_sel:[0,0,1] op_sel_hi:[1,0,0] neg_lo:[0,0,1] neg_hi:[0,0,1]
	v_pk_mul_f32 v[16:17], v[98:99], v[6:7] op_sel_hi:[1,0]
	s_waitcnt vmcnt(5)
	v_mov_b32_e32 v6, v59
	v_pk_fma_f32 v[108:109], v[98:99], v[54:55], v[16:17] op_sel:[0,0,1] op_sel_hi:[1,1,0]
	v_pk_fma_f32 v[98:99], v[98:99], v[54:55], v[16:17] op_sel:[0,0,1] op_sel_hi:[1,0,0] neg_lo:[0,0,1] neg_hi:[0,0,1]
	ds_read2_b64 v[52:55], v112 offset0:54 offset1:189
	s_waitcnt lgkmcnt(1)
	v_pk_mul_f32 v[16:17], v[102:103], v[56:57] op_sel:[0,1]
	v_lshlrev_b32_sdwa v3, v14, v143 dst_sel:DWORD dst_unused:UNUSED_PAD src0_sel:DWORD src1_sel:BYTE_0
	v_pk_fma_f32 v[18:19], v[102:103], v[56:57], v[16:17] op_sel:[0,0,1] op_sel_hi:[1,1,0]
	v_pk_fma_f32 v[102:103], v[102:103], v[56:57], v[16:17] op_sel:[0,0,1] op_sel_hi:[1,0,0] neg_lo:[0,0,1] neg_hi:[0,0,1]
	s_waitcnt lgkmcnt(0)
	v_pk_mul_f32 v[16:17], v[54:55], v[6:7] op_sel_hi:[1,0]
	s_waitcnt vmcnt(4)
	v_mov_b32_e32 v6, v79
	v_pk_fma_f32 v[40:41], v[54:55], v[58:59], v[16:17] op_sel:[0,0,1] op_sel_hi:[1,1,0]
	v_pk_fma_f32 v[122:123], v[54:55], v[58:59], v[16:17] op_sel:[0,0,1] op_sel_hi:[1,0,0] neg_lo:[0,0,1] neg_hi:[0,0,1]
	v_pk_mul_f32 v[16:17], v[100:101], v[76:77] op_sel:[0,1]
	ds_read2_b64 v[54:57], v75 offset0:42 offset1:177
	v_pk_fma_f32 v[124:125], v[100:101], v[76:77], v[16:17] op_sel:[0,0,1] op_sel_hi:[1,1,0]
	v_pk_fma_f32 v[100:101], v[100:101], v[76:77], v[16:17] op_sel:[0,0,1] op_sel_hi:[1,0,0] neg_lo:[0,0,1] neg_hi:[0,0,1]
	v_pk_mul_f32 v[16:17], v[52:53], v[6:7] op_sel_hi:[1,0]
	s_waitcnt vmcnt(3)
	v_mov_b32_e32 v6, v85
	v_pk_fma_f32 v[126:127], v[52:53], v[78:79], v[16:17] op_sel:[0,0,1] op_sel_hi:[1,1,0]
	v_pk_fma_f32 v[128:129], v[52:53], v[78:79], v[16:17] op_sel:[0,0,1] op_sel_hi:[1,0,0] neg_lo:[0,0,1] neg_hi:[0,0,1]
	ds_read2_b64 v[76:79], v117 offset0:84 offset1:219
	s_waitcnt lgkmcnt(1)
	v_pk_mul_f32 v[16:17], v[56:57], v[82:83] op_sel:[0,1]
	v_add3_u32 v1, 0, v1, v3
	v_pk_fma_f32 v[130:131], v[56:57], v[82:83], v[16:17] op_sel:[0,0,1] op_sel_hi:[1,1,0]
	v_pk_fma_f32 v[82:83], v[56:57], v[82:83], v[16:17] op_sel:[0,0,1] op_sel_hi:[1,0,0] neg_lo:[0,0,1] neg_hi:[0,0,1]
	s_waitcnt lgkmcnt(0)
	v_pk_mul_f32 v[16:17], v[78:79], v[6:7] op_sel_hi:[1,0]
	s_waitcnt vmcnt(2)
	v_mov_b32_e32 v6, v89
	v_pk_fma_f32 v[132:133], v[78:79], v[84:85], v[16:17] op_sel:[0,0,1] op_sel_hi:[1,1,0]
	v_pk_fma_f32 v[78:79], v[78:79], v[84:85], v[16:17] op_sel:[0,0,1] op_sel_hi:[1,0,0] neg_lo:[0,0,1] neg_hi:[0,0,1]
	v_pk_mul_f32 v[16:17], v[86:87], v[54:55] op_sel:[0,1]
	v_pk_mul_f32 v[56:57], v[76:77], v[6:7] op_sel_hi:[1,0]
	v_pk_fma_f32 v[84:85], v[86:87], v[54:55], v[16:17] op_sel:[0,0,1] op_sel_hi:[1,1,0]
	v_pk_fma_f32 v[16:17], v[86:87], v[54:55], v[16:17] op_sel:[0,0,1] op_sel_hi:[1,0,0] neg_lo:[1,0,0] neg_hi:[1,0,0]
	ds_read2_b64 v[52:55], v114 offset0:62 offset1:197
	v_pk_fma_f32 v[86:87], v[76:77], v[88:89], v[56:57] op_sel:[0,0,1] op_sel_hi:[1,1,0]
	v_pk_fma_f32 v[76:77], v[76:77], v[88:89], v[56:57] op_sel:[0,0,1] op_sel_hi:[1,0,0] neg_lo:[0,0,1] neg_hi:[0,0,1]
	ds_read2_b64 v[56:59], v115 offset0:40 offset1:175
	s_waitcnt vmcnt(1)
	v_mov_b32_e32 v6, v93
	s_waitcnt lgkmcnt(1)
	v_pk_mul_f32 v[88:89], v[54:55], v[90:91] op_sel:[0,1]
	v_mov_b32_e32 v85, v17
	v_pk_fma_f32 v[134:135], v[54:55], v[90:91], v[88:89] op_sel:[0,0,1] op_sel_hi:[1,1,0]
	v_pk_fma_f32 v[88:89], v[54:55], v[90:91], v[88:89] op_sel:[0,0,1] op_sel_hi:[1,0,0] neg_lo:[0,0,1] neg_hi:[0,0,1]
	s_waitcnt lgkmcnt(0)
	v_pk_mul_f32 v[54:55], v[58:59], v[6:7] op_sel_hi:[1,0]
	s_waitcnt vmcnt(0)
	v_mov_b32_e32 v6, v97
	v_pk_fma_f32 v[90:91], v[58:59], v[92:93], v[54:55] op_sel:[0,0,1] op_sel_hi:[1,1,0]
	v_pk_fma_f32 v[58:59], v[58:59], v[92:93], v[54:55] op_sel:[0,0,1] op_sel_hi:[1,0,0] neg_lo:[0,0,1] neg_hi:[0,0,1]
	v_pk_mul_f32 v[54:55], v[52:53], v[94:95] op_sel:[0,1]
	v_mov_b32_e32 v87, v77
	v_pk_fma_f32 v[92:93], v[52:53], v[94:95], v[54:55] op_sel:[0,0,1] op_sel_hi:[1,1,0]
	v_pk_fma_f32 v[52:53], v[52:53], v[94:95], v[54:55] op_sel:[0,0,1] op_sel_hi:[1,0,0] neg_lo:[0,0,1] neg_hi:[0,0,1]
	v_pk_mul_f32 v[54:55], v[56:57], v[6:7] op_sel_hi:[1,0]
	v_mov_b32_e32 v93, v53
	v_pk_fma_f32 v[94:95], v[56:57], v[96:97], v[54:55] op_sel:[0,0,1] op_sel_hi:[1,1,0]
	v_pk_fma_f32 v[54:55], v[56:57], v[96:97], v[54:55] op_sel:[0,0,1] op_sel_hi:[1,0,0] neg_lo:[0,0,1] neg_hi:[0,0,1]
	v_pk_add_f32 v[16:17], v[84:85], v[86:87] neg_lo:[0,1] neg_hi:[0,1]
	v_mov_b32_e32 v95, v55
	ds_read2_b64 v[52:55], v110 offset1:135
	v_pk_add_f32 v[56:57], v[94:95], v[92:93] neg_lo:[0,1] neg_hi:[0,1]
	v_pk_add_f32 v[76:77], v[84:85], v[94:95] neg_lo:[0,1] neg_hi:[0,1]
	v_pk_add_f32 v[56:57], v[16:17], v[56:57]
	v_pk_add_f32 v[16:17], v[86:87], v[92:93]
	v_pk_mul_f32 v[96:97], v[76:77], s[2:3] op_sel_hi:[1,0]
	s_waitcnt lgkmcnt(0)
	v_pk_fma_f32 v[16:17], v[16:17], 0.5, v[52:53] op_sel_hi:[1,0,1] neg_lo:[1,0,0] neg_hi:[1,0,0]
	v_pk_mul_f32 v[76:77], v[76:77], s[6:7] op_sel_hi:[1,0]
	v_pk_add_f32 v[136:137], v[16:17], v[96:97] op_sel:[0,1] op_sel_hi:[1,0] neg_lo:[0,1] neg_hi:[0,1]
	v_pk_add_f32 v[16:17], v[16:17], v[96:97] op_sel:[0,1] op_sel_hi:[1,0]
	v_pk_add_f32 v[96:97], v[86:87], v[92:93] neg_lo:[0,1] neg_hi:[0,1]
	v_mov_b32_e32 v131, v83
	v_pk_mul_f32 v[138:139], v[96:97], s[6:7] op_sel_hi:[1,0]
	v_mov_b32_e32 v133, v79
	v_pk_add_f32 v[140:141], v[16:17], v[138:139] op_sel:[0,1] op_sel_hi:[1,0]
	v_pk_add_f32 v[16:17], v[52:53], v[84:85]
	v_pk_add_f32 v[136:137], v[136:137], v[138:139] op_sel:[0,1] op_sel_hi:[1,0] neg_lo:[0,1] neg_hi:[0,1]
	v_pk_add_f32 v[16:17], v[16:17], v[86:87]
	v_pk_add_f32 v[86:87], v[86:87], v[84:85] neg_lo:[0,1] neg_hi:[0,1]
	v_pk_add_f32 v[84:85], v[84:85], v[94:95]
	v_pk_add_f32 v[16:17], v[16:17], v[92:93]
	v_pk_add_f32 v[92:93], v[92:93], v[94:95] neg_lo:[0,1] neg_hi:[0,1]
	v_pk_fma_f32 v[52:53], v[84:85], 0.5, v[52:53] op_sel_hi:[1,0,1] neg_lo:[1,0,0] neg_hi:[1,0,0]
	v_pk_mul_f32 v[84:85], v[96:97], s[2:3] op_sel_hi:[1,0]
	v_pk_add_f32 v[86:87], v[86:87], v[92:93]
	v_pk_add_f32 v[92:93], v[52:53], v[84:85] op_sel:[0,1] op_sel_hi:[1,0]
	v_pk_add_f32 v[52:53], v[52:53], v[84:85] op_sel:[0,1] op_sel_hi:[1,0] neg_lo:[0,1] neg_hi:[0,1]
	v_mov_b32_e32 v149, v141
	v_pk_add_f32 v[52:53], v[52:53], v[76:77] op_sel:[0,1] op_sel_hi:[1,0]
	v_pk_add_f32 v[76:77], v[92:93], v[76:77] op_sel:[0,1] op_sel_hi:[1,0] neg_lo:[0,1] neg_hi:[0,1]
	v_mov_b32_e32 v85, v53
	v_mov_b32_e32 v84, v76
	v_mov_b32_e32 v53, v77
	v_pk_fma_f32 v[76:77], v[86:87], s[8:9], v[84:85] op_sel_hi:[1,0,1]
	v_pk_fma_f32 v[52:53], v[86:87], s[8:9], v[52:53] op_sel_hi:[1,0,1]
	v_mov_b32_e32 v141, v137
	v_pk_add_f32 v[138:139], v[16:17], v[94:95]
	ds_read_b64 v[16:17], v67
	ds_read_b64 v[142:143], v69
	;; [unrolled: 1-line block ×4, first 2 shown]
	s_waitcnt lgkmcnt(0)
	s_barrier
	v_mov_b32_e32 v148, v136
	ds_write2_b64 v1, v[76:77], v[52:53] offset0:20 offset1:30
	v_pk_fma_f32 v[52:53], v[56:57], s[8:9], v[140:141] op_sel_hi:[1,0,1]
	v_mov_b32_e32 v135, v89
	v_mov_b32_e32 v91, v59
	v_pk_fma_f32 v[148:149], v[56:57], s[8:9], v[148:149] op_sel_hi:[1,0,1]
	ds_write_b64 v1, v[52:53] offset:320
	v_pk_add_f32 v[52:53], v[130:131], v[132:133] neg_lo:[0,1] neg_hi:[0,1]
	v_pk_add_f32 v[56:57], v[90:91], v[134:135] neg_lo:[0,1] neg_hi:[0,1]
	;; [unrolled: 1-line block ×3, first 2 shown]
	v_pk_add_f32 v[52:53], v[52:53], v[56:57]
	v_pk_add_f32 v[56:57], v[132:133], v[134:135]
	v_pk_mul_f32 v[76:77], v[58:59], s[2:3] op_sel_hi:[1,0]
	v_pk_fma_f32 v[56:57], v[56:57], 0.5, v[54:55] op_sel_hi:[1,0,1] neg_lo:[1,0,0] neg_hi:[1,0,0]
	ds_write2_b64 v1, v[138:139], v[148:149] offset1:10
	v_pk_add_f32 v[78:79], v[56:57], v[76:77] op_sel:[0,1] op_sel_hi:[1,0] neg_lo:[0,1] neg_hi:[0,1]
	v_pk_add_f32 v[56:57], v[56:57], v[76:77] op_sel:[0,1] op_sel_hi:[1,0]
	v_pk_add_f32 v[76:77], v[132:133], v[134:135] neg_lo:[0,1] neg_hi:[0,1]
	v_mul_u32_u24_e32 v1, 0x190, v152
	v_pk_mul_f32 v[82:83], v[76:77], s[6:7] op_sel_hi:[1,0]
	v_lshlrev_b32_e32 v3, 3, v153
	v_pk_add_f32 v[56:57], v[56:57], v[82:83] op_sel:[0,1] op_sel_hi:[1,0]
	v_pk_add_f32 v[78:79], v[78:79], v[82:83] op_sel:[0,1] op_sel_hi:[1,0] neg_lo:[0,1] neg_hi:[0,1]
	v_pk_add_f32 v[82:83], v[54:55], v[130:131]
	v_mov_b32_e32 v84, v78
	v_pk_add_f32 v[82:83], v[82:83], v[132:133]
	v_mov_b32_e32 v85, v57
	v_pk_add_f32 v[82:83], v[82:83], v[134:135]
	v_add3_u32 v1, 0, v1, v3
	v_pk_add_f32 v[82:83], v[82:83], v[90:91]
	v_pk_fma_f32 v[84:85], v[52:53], s[8:9], v[84:85] op_sel_hi:[1,0,1]
	ds_write2_b64 v1, v[82:83], v[84:85] offset1:10
	v_pk_add_f32 v[82:83], v[130:131], v[90:91]
	v_pk_add_f32 v[84:85], v[134:135], v[90:91] neg_lo:[0,1] neg_hi:[0,1]
	v_pk_fma_f32 v[54:55], v[82:83], 0.5, v[54:55] op_sel_hi:[1,0,1] neg_lo:[1,0,0] neg_hi:[1,0,0]
	v_pk_add_f32 v[82:83], v[132:133], v[130:131] neg_lo:[0,1] neg_hi:[0,1]
	v_pk_mul_f32 v[76:77], v[76:77], s[2:3] op_sel_hi:[1,0]
	v_pk_add_f32 v[82:83], v[82:83], v[84:85]
	v_pk_add_f32 v[84:85], v[54:55], v[76:77] op_sel:[0,1] op_sel_hi:[1,0]
	v_pk_add_f32 v[54:55], v[54:55], v[76:77] op_sel:[0,1] op_sel_hi:[1,0] neg_lo:[0,1] neg_hi:[0,1]
	v_pk_mul_f32 v[58:59], v[58:59], s[6:7] op_sel_hi:[1,0]
	v_mov_b32_e32 v57, v79
	v_pk_add_f32 v[54:55], v[54:55], v[58:59] op_sel:[0,1] op_sel_hi:[1,0]
	v_pk_add_f32 v[58:59], v[84:85], v[58:59] op_sel:[0,1] op_sel_hi:[1,0] neg_lo:[0,1] neg_hi:[0,1]
	v_mov_b32_e32 v77, v55
	v_mov_b32_e32 v76, v58
	;; [unrolled: 1-line block ×3, first 2 shown]
	v_pk_fma_f32 v[58:59], v[82:83], s[8:9], v[76:77] op_sel_hi:[1,0,1]
	v_pk_fma_f32 v[54:55], v[82:83], s[8:9], v[54:55] op_sel_hi:[1,0,1]
	;; [unrolled: 1-line block ×3, first 2 shown]
	v_mov_b32_e32 v105, v107
	v_mov_b32_e32 v109, v99
	;; [unrolled: 1-line block ×4, first 2 shown]
	ds_write2_b64 v1, v[58:59], v[54:55] offset0:20 offset1:30
	ds_write_b64 v1, v[52:53] offset:320
	v_pk_add_f32 v[52:53], v[104:105], v[108:109] neg_lo:[0,1] neg_hi:[0,1]
	v_pk_add_f32 v[54:55], v[126:127], v[124:125] neg_lo:[0,1] neg_hi:[0,1]
	;; [unrolled: 1-line block ×3, first 2 shown]
	v_pk_add_f32 v[52:53], v[52:53], v[54:55]
	v_pk_add_f32 v[54:55], v[108:109], v[124:125]
	v_pk_mul_f32 v[58:59], v[56:57], s[2:3] op_sel_hi:[1,0]
	v_pk_fma_f32 v[54:55], v[54:55], 0.5, v[146:147] op_sel_hi:[1,0,1] neg_lo:[1,0,0] neg_hi:[1,0,0]
	s_mov_b32 s3, 0x5040100
	v_pk_add_f32 v[76:77], v[54:55], v[58:59] op_sel:[0,1] op_sel_hi:[1,0] neg_lo:[0,1] neg_hi:[0,1]
	v_pk_add_f32 v[54:55], v[54:55], v[58:59] op_sel:[0,1] op_sel_hi:[1,0]
	v_pk_add_f32 v[58:59], v[108:109], v[124:125] neg_lo:[0,1] neg_hi:[0,1]
	v_perm_b32 v1, v81, v150, s3
	v_pk_mul_f32 v[78:79], v[58:59], s[6:7] op_sel_hi:[1,0]
	s_movk_i32 s7, 0x190
	v_pk_add_f32 v[54:55], v[54:55], v[78:79] op_sel:[0,1] op_sel_hi:[1,0]
	v_pk_add_f32 v[76:77], v[76:77], v[78:79] op_sel:[0,1] op_sel_hi:[1,0] neg_lo:[0,1] neg_hi:[0,1]
	v_pk_add_f32 v[78:79], v[146:147], v[104:105]
	v_pk_mul_lo_u16 v1, v1, s7 op_sel_hi:[1,0]
	v_pk_add_f32 v[78:79], v[78:79], v[108:109]
	v_lshlrev_b32_e32 v3, 3, v151
	v_and_b32_e32 v5, 0xfff0, v1
	v_pk_add_f32 v[78:79], v[78:79], v[124:125]
	v_mov_b32_e32 v82, v76
	v_mov_b32_e32 v83, v55
	v_add3_u32 v3, 0, v5, v3
	v_pk_add_f32 v[78:79], v[78:79], v[126:127]
	v_pk_fma_f32 v[82:83], v[52:53], s[8:9], v[82:83] op_sel_hi:[1,0,1]
	ds_write2_b64 v3, v[78:79], v[82:83] offset1:10
	v_pk_add_f32 v[78:79], v[104:105], v[126:127]
	v_pk_add_f32 v[82:83], v[108:109], v[104:105] neg_lo:[0,1] neg_hi:[0,1]
	v_pk_fma_f32 v[78:79], v[78:79], 0.5, v[146:147] op_sel_hi:[1,0,1] neg_lo:[1,0,0] neg_hi:[1,0,0]
	v_pk_add_f32 v[84:85], v[124:125], v[126:127] neg_lo:[0,1] neg_hi:[0,1]
	v_pk_mul_f32 v[58:59], v[58:59], s[2:3] op_sel_hi:[1,0]
	v_pk_add_f32 v[82:83], v[82:83], v[84:85]
	v_pk_add_f32 v[84:85], v[78:79], v[58:59] op_sel:[0,1] op_sel_hi:[1,0]
	v_pk_add_f32 v[58:59], v[78:79], v[58:59] op_sel:[0,1] op_sel_hi:[1,0] neg_lo:[0,1] neg_hi:[0,1]
	v_pk_mul_f32 v[56:57], v[56:57], s[6:7] op_sel_hi:[1,0]
	v_mov_b32_e32 v55, v77
	v_mov_b32_e32 v37, v43
	;; [unrolled: 1-line block ×5, first 2 shown]
	v_pk_add_f32 v[58:59], v[58:59], v[56:57] op_sel:[0,1] op_sel_hi:[1,0]
	v_pk_add_f32 v[56:57], v[84:85], v[56:57] op_sel:[0,1] op_sel_hi:[1,0] neg_lo:[0,1] neg_hi:[0,1]
	v_pk_fma_f32 v[52:53], v[52:53], s[8:9], v[54:55] op_sel_hi:[1,0,1]
	v_pk_add_f32 v[42:43], v[36:37], v[38:39] neg_lo:[0,1] neg_hi:[0,1]
	v_pk_add_f32 v[44:45], v[40:41], v[18:19] neg_lo:[0,1] neg_hi:[0,1]
	v_mov_b32_e32 v78, v56
	v_mov_b32_e32 v79, v59
	;; [unrolled: 1-line block ×3, first 2 shown]
	ds_write_b64 v3, v[52:53] offset:320
	v_pk_add_f32 v[42:43], v[42:43], v[44:45]
	v_pk_add_f32 v[44:45], v[38:39], v[18:19]
	v_pk_add_f32 v[52:53], v[36:37], v[40:41] neg_lo:[0,1] neg_hi:[0,1]
	v_pk_fma_f32 v[56:57], v[82:83], s[8:9], v[78:79] op_sel_hi:[1,0,1]
	v_pk_fma_f32 v[58:59], v[82:83], s[8:9], v[58:59] op_sel_hi:[1,0,1]
	v_pk_fma_f32 v[44:45], v[44:45], 0.5, v[144:145] op_sel_hi:[1,0,1] neg_lo:[1,0,0] neg_hi:[1,0,0]
	v_pk_mul_f32 v[54:55], v[52:53], s[2:3] op_sel_hi:[1,0]
	ds_write2_b64 v3, v[56:57], v[58:59] offset0:20 offset1:30
	v_pk_add_f32 v[56:57], v[44:45], v[54:55] op_sel:[0,1] op_sel_hi:[1,0] neg_lo:[0,1] neg_hi:[0,1]
	v_pk_add_f32 v[44:45], v[44:45], v[54:55] op_sel:[0,1] op_sel_hi:[1,0]
	v_pk_add_f32 v[54:55], v[38:39], v[18:19] neg_lo:[0,1] neg_hi:[0,1]
	v_lshrrev_b32_e32 v1, 16, v1
	v_pk_mul_f32 v[58:59], v[54:55], s[6:7] op_sel_hi:[1,0]
	v_lshlrev_b32_e32 v3, 3, v51
	v_pk_add_f32 v[44:45], v[44:45], v[58:59] op_sel:[0,1] op_sel_hi:[1,0]
	v_pk_add_f32 v[56:57], v[56:57], v[58:59] op_sel:[0,1] op_sel_hi:[1,0] neg_lo:[0,1] neg_hi:[0,1]
	v_pk_add_f32 v[58:59], v[144:145], v[36:37]
	v_mov_b32_e32 v76, v56
	v_pk_add_f32 v[58:59], v[58:59], v[38:39]
	v_mov_b32_e32 v77, v45
	v_pk_add_f32 v[58:59], v[58:59], v[18:19]
	v_add3_u32 v1, 0, v1, v3
	v_pk_add_f32 v[58:59], v[58:59], v[40:41]
	v_pk_fma_f32 v[76:77], v[42:43], s[8:9], v[76:77] op_sel_hi:[1,0,1]
	ds_write2_b64 v1, v[58:59], v[76:77] offset1:10
	v_pk_add_f32 v[58:59], v[36:37], v[40:41]
	v_pk_add_f32 v[36:37], v[38:39], v[36:37] neg_lo:[0,1] neg_hi:[0,1]
	v_pk_add_f32 v[18:19], v[18:19], v[40:41] neg_lo:[0,1] neg_hi:[0,1]
	v_pk_fma_f32 v[58:59], v[58:59], 0.5, v[144:145] op_sel_hi:[1,0,1] neg_lo:[1,0,0] neg_hi:[1,0,0]
	v_pk_add_f32 v[18:19], v[36:37], v[18:19]
	v_pk_mul_f32 v[36:37], v[54:55], s[2:3] op_sel_hi:[1,0]
	v_pk_mul_f32 v[40:41], v[52:53], s[6:7] op_sel_hi:[1,0]
	v_pk_add_f32 v[38:39], v[58:59], v[36:37] op_sel:[0,1] op_sel_hi:[1,0]
	v_pk_add_f32 v[36:37], v[58:59], v[36:37] op_sel:[0,1] op_sel_hi:[1,0] neg_lo:[0,1] neg_hi:[0,1]
	v_pk_add_f32 v[38:39], v[38:39], v[40:41] op_sel:[0,1] op_sel_hi:[1,0] neg_lo:[0,1] neg_hi:[0,1]
	v_pk_add_f32 v[36:37], v[36:37], v[40:41] op_sel:[0,1] op_sel_hi:[1,0]
	v_mov_b32_e32 v40, v38
	v_mov_b32_e32 v41, v37
	;; [unrolled: 1-line block ×3, first 2 shown]
	v_pk_fma_f32 v[38:39], v[18:19], s[8:9], v[40:41] op_sel_hi:[1,0,1]
	v_pk_fma_f32 v[18:19], v[18:19], s[8:9], v[36:37] op_sel_hi:[1,0,1]
	v_mov_b32_e32 v45, v57
	ds_write2_b64 v1, v[38:39], v[18:19] offset0:20 offset1:30
	v_pk_fma_f32 v[18:19], v[42:43], s[8:9], v[44:45] op_sel_hi:[1,0,1]
	v_mov_b32_e32 v27, v31
	v_mov_b32_e32 v29, v33
	;; [unrolled: 1-line block ×4, first 2 shown]
	ds_write_b64 v1, v[18:19] offset:320
	v_pk_add_f32 v[18:19], v[26:27], v[28:29] neg_lo:[0,1] neg_hi:[0,1]
	v_pk_add_f32 v[30:31], v[12:13], v[8:9] neg_lo:[0,1] neg_hi:[0,1]
	;; [unrolled: 1-line block ×3, first 2 shown]
	v_pk_add_f32 v[18:19], v[18:19], v[30:31]
	v_pk_add_f32 v[30:31], v[28:29], v[8:9]
	v_pk_mul_f32 v[34:35], v[32:33], s[2:3] op_sel_hi:[1,0]
	v_pk_fma_f32 v[30:31], v[30:31], 0.5, v[142:143] op_sel_hi:[1,0,1] neg_lo:[1,0,0] neg_hi:[1,0,0]
	v_perm_b32 v1, v48, v49, s3
	v_pk_add_f32 v[36:37], v[30:31], v[34:35] op_sel:[0,1] op_sel_hi:[1,0] neg_lo:[0,1] neg_hi:[0,1]
	v_pk_add_f32 v[30:31], v[30:31], v[34:35] op_sel:[0,1] op_sel_hi:[1,0]
	v_pk_add_f32 v[34:35], v[28:29], v[8:9] neg_lo:[0,1] neg_hi:[0,1]
	v_pk_mul_lo_u16 v15, v1, s7 op_sel_hi:[1,0]
	v_pk_mul_f32 v[38:39], v[34:35], s[6:7] op_sel_hi:[1,0]
	v_lshlrev_b32_e32 v1, 3, v50
	v_pk_add_f32 v[30:31], v[30:31], v[38:39] op_sel:[0,1] op_sel_hi:[1,0]
	v_pk_add_f32 v[36:37], v[36:37], v[38:39] op_sel:[0,1] op_sel_hi:[1,0] neg_lo:[0,1] neg_hi:[0,1]
	v_pk_add_f32 v[38:39], v[142:143], v[26:27]
	v_and_b32_e32 v3, 0xfff0, v15
	v_pk_add_f32 v[38:39], v[38:39], v[28:29]
	v_add3_u32 v22, 0, v3, v1
	v_pk_add_f32 v[38:39], v[38:39], v[8:9]
	v_mov_b32_e32 v3, v7
	v_mov_b32_e32 v5, v11
	v_pk_add_f32 v[6:7], v[26:27], v[12:13]
	v_pk_add_f32 v[10:11], v[28:29], v[26:27] neg_lo:[0,1] neg_hi:[0,1]
	v_pk_add_f32 v[8:9], v[8:9], v[12:13] neg_lo:[0,1] neg_hi:[0,1]
	v_pk_fma_f32 v[6:7], v[6:7], 0.5, v[142:143] op_sel_hi:[1,0,1] neg_lo:[1,0,0] neg_hi:[1,0,0]
	v_pk_add_f32 v[8:9], v[10:11], v[8:9]
	v_pk_mul_f32 v[10:11], v[34:35], s[2:3] op_sel_hi:[1,0]
	v_pk_add_f32 v[38:39], v[38:39], v[12:13]
	v_pk_add_f32 v[12:13], v[6:7], v[10:11] op_sel:[0,1] op_sel_hi:[1,0]
	v_pk_add_f32 v[6:7], v[6:7], v[10:11] op_sel:[0,1] op_sel_hi:[1,0] neg_lo:[0,1] neg_hi:[0,1]
	v_lshrrev_b32_e32 v10, 16, v15
	v_lshlrev_b32_e32 v11, 3, v47
	v_add3_u32 v15, 0, v10, v11
	v_pk_mul_f32 v[10:11], v[32:33], s[6:7] op_sel_hi:[1,0]
	v_mov_b32_e32 v41, v31
	v_pk_add_f32 v[6:7], v[6:7], v[10:11] op_sel:[0,1] op_sel_hi:[1,0]
	v_pk_add_f32 v[10:11], v[12:13], v[10:11] op_sel:[0,1] op_sel_hi:[1,0] neg_lo:[0,1] neg_hi:[0,1]
	v_mov_b32_e32 v13, v7
	v_mov_b32_e32 v12, v10
	v_mov_b32_e32 v7, v11
	v_pk_fma_f32 v[12:13], v[8:9], s[8:9], v[12:13] op_sel_hi:[1,0,1]
	v_pk_fma_f32 v[6:7], v[8:9], s[8:9], v[6:7] op_sel_hi:[1,0,1]
	v_mov_b32_e32 v31, v37
	v_mov_b32_e32 v40, v36
	;; [unrolled: 1-line block ×3, first 2 shown]
	ds_write2_b64 v22, v[12:13], v[6:7] offset0:20 offset1:30
	v_pk_fma_f32 v[6:7], v[18:19], s[8:9], v[30:31] op_sel_hi:[1,0,1]
	v_pk_fma_f32 v[40:41], v[18:19], s[8:9], v[40:41] op_sel_hi:[1,0,1]
	ds_write_b64 v22, v[6:7] offset:320
	v_pk_add_f32 v[6:7], v[0:1], v[2:3]
	v_pk_add_f32 v[8:9], v[20:21], v[4:5] neg_lo:[0,1] neg_hi:[0,1]
	ds_write2_b64 v22, v[38:39], v[40:41] offset1:10
	v_pk_fma_f32 v[6:7], v[6:7], 0.5, v[16:17] op_sel_hi:[1,0,1] neg_lo:[1,0,0] neg_hi:[1,0,0]
	v_pk_mul_f32 v[12:13], v[8:9], s[2:3] op_sel_hi:[1,0]
	v_pk_add_f32 v[18:19], v[0:1], v[2:3] neg_lo:[0,1] neg_hi:[0,1]
	v_pk_add_f32 v[22:23], v[20:21], v[0:1] neg_lo:[0,1] neg_hi:[0,1]
	;; [unrolled: 1-line block ×3, first 2 shown]
	v_pk_add_f32 v[10:11], v[16:17], v[20:21]
	v_pk_add_f32 v[22:23], v[22:23], v[24:25]
	v_pk_add_f32 v[24:25], v[6:7], v[12:13] op_sel:[0,1] op_sel_hi:[1,0] neg_lo:[0,1] neg_hi:[0,1]
	v_pk_add_f32 v[6:7], v[6:7], v[12:13] op_sel:[0,1] op_sel_hi:[1,0]
	v_pk_mul_f32 v[12:13], v[18:19], s[6:7] op_sel_hi:[1,0]
	v_pk_add_f32 v[10:11], v[10:11], v[0:1]
	v_pk_add_f32 v[6:7], v[6:7], v[12:13] op_sel:[0,1] op_sel_hi:[1,0]
	v_pk_add_f32 v[12:13], v[24:25], v[12:13] op_sel:[0,1] op_sel_hi:[1,0] neg_lo:[0,1] neg_hi:[0,1]
	v_pk_add_f32 v[10:11], v[10:11], v[2:3]
	v_mov_b32_e32 v24, v12
	v_mov_b32_e32 v25, v7
	v_pk_add_f32 v[10:11], v[10:11], v[4:5]
	v_pk_fma_f32 v[24:25], v[22:23], s[8:9], v[24:25] op_sel_hi:[1,0,1]
	ds_write2_b64 v15, v[10:11], v[24:25] offset1:10
	v_pk_add_f32 v[10:11], v[20:21], v[4:5]
	v_pk_add_f32 v[0:1], v[0:1], v[20:21] neg_lo:[0,1] neg_hi:[0,1]
	v_pk_add_f32 v[2:3], v[2:3], v[4:5] neg_lo:[0,1] neg_hi:[0,1]
	v_pk_fma_f32 v[10:11], v[10:11], 0.5, v[16:17] op_sel_hi:[1,0,1] neg_lo:[1,0,0] neg_hi:[1,0,0]
	v_pk_add_f32 v[0:1], v[0:1], v[2:3]
	v_pk_mul_f32 v[2:3], v[18:19], s[2:3] op_sel_hi:[1,0]
	v_pk_mul_f32 v[4:5], v[8:9], s[6:7] op_sel_hi:[1,0]
	v_pk_add_f32 v[8:9], v[10:11], v[2:3] op_sel:[0,1] op_sel_hi:[1,0]
	v_pk_add_f32 v[2:3], v[10:11], v[2:3] op_sel:[0,1] op_sel_hi:[1,0] neg_lo:[0,1] neg_hi:[0,1]
	v_add_u32_e32 v20, 0x3b1, v62
	v_pk_add_f32 v[2:3], v[2:3], v[4:5] op_sel:[0,1] op_sel_hi:[1,0]
	v_pk_add_f32 v[4:5], v[8:9], v[4:5] op_sel:[0,1] op_sel_hi:[1,0] neg_lo:[0,1] neg_hi:[0,1]
	v_mov_b32_e32 v9, v3
	v_mov_b32_e32 v8, v4
	;; [unrolled: 1-line block ×3, first 2 shown]
	v_pk_fma_f32 v[8:9], v[0:1], s[8:9], v[8:9] op_sel_hi:[1,0,1]
	v_pk_fma_f32 v[0:1], v[0:1], s[8:9], v[2:3] op_sel_hi:[1,0,1]
	v_mov_b32_e32 v7, v13
	v_lshrrev_b16_e32 v13, 1, v20
	ds_write2_b64 v15, v[8:9], v[0:1] offset0:20 offset1:30
	v_pk_fma_f32 v[0:1], v[22:23], s[8:9], v[6:7] op_sel_hi:[1,0,1]
	v_lshrrev_b16_e32 v22, 1, v72
	v_mul_u32_u24_e32 v8, 0x147b, v13
	ds_write_b64 v15, v[0:1] offset:320
	v_mul_u32_u24_e32 v0, 0x147b, v22
	v_lshrrev_b32_e32 v27, 17, v8
	v_lshrrev_b32_e32 v24, 17, v0
	v_lshrrev_b16_e32 v12, 1, v70
	v_mul_lo_u16_e32 v8, 50, v27
	v_mul_lo_u16_e32 v0, 50, v24
	v_mul_u32_u24_e32 v4, 0x147b, v12
	v_sub_u16_e32 v47, v20, v8
	v_add_u32_e32 v21, 0x32a, v62
	v_sub_u16_e32 v23, v72, v0
	v_lshrrev_b32_e32 v25, 17, v4
	v_lshlrev_b32_e32 v8, 4, v47
	v_lshrrev_b16_e32 v16, 1, v21
	s_waitcnt lgkmcnt(0)
	s_barrier
	v_lshlrev_b32_e32 v0, 4, v23
	v_mul_lo_u16_e32 v4, 50, v25
	global_load_dwordx4 v[28:31], v8, s[4:5] offset:320
	v_mul_u32_u24_e32 v8, 0x147b, v16
	global_load_dwordx4 v[0:3], v0, s[4:5] offset:320
	v_sub_u16_e32 v26, v70, v4
	v_lshrrev_b32_e32 v81, 17, v8
	v_lshlrev_b32_e32 v4, 4, v26
	global_load_dwordx4 v[4:7], v4, s[4:5] offset:320
	v_mul_lo_u16_e32 v8, 50, v81
	v_sub_u16_e32 v121, v21, v8
	v_lshlrev_b32_e32 v8, 4, v121
	v_lshrrev_b16_e32 v17, 1, v66
	global_load_dwordx4 v[32:35], v8, s[4:5] offset:320
	v_mul_u32_u24_e32 v8, 0x147b, v17
	v_lshrrev_b32_e32 v146, 17, v8
	v_mul_lo_u16_e32 v8, 50, v146
	v_sub_u16_e32 v147, v66, v8
	v_lshlrev_b32_e32 v8, 4, v147
	v_lshrrev_b16_e32 v18, 1, v74
	global_load_dwordx4 v[36:39], v8, s[4:5] offset:320
	v_mul_u32_u24_e32 v8, 0x147b, v18
	v_lshrrev_b32_e32 v148, 17, v8
	;; [unrolled: 7-line block ×4, first 2 shown]
	v_mul_lo_u16_e32 v8, 50, v152
	v_sub_u16_e32 v153, v64, v8
	v_lshlrev_b32_e32 v8, 4, v153
	global_load_dwordx4 v[52:55], v8, s[4:5] offset:320
	v_lshrrev_b16_e32 v8, 1, v46
	v_mul_u32_u24_e32 v8, 0x147b, v8
	v_lshrrev_b32_e32 v154, 17, v8
	v_mul_lo_u16_e32 v8, 50, v154
	v_sub_u16_e32 v155, v46, v8
	v_lshlrev_b32_e32 v8, 4, v155
	v_mov_b32_e32 v9, 41
	global_load_dwordx4 v[56:59], v8, s[4:5] offset:320
	v_mul_lo_u16_sdwa v8, v62, v9 dst_sel:DWORD dst_unused:UNUSED_PAD src0_sel:BYTE_0 src1_sel:DWORD
	v_lshrrev_b16_e32 v136, 11, v8
	v_mul_lo_u16_e32 v8, 50, v136
	v_sub_u16_e32 v137, v62, v8
	v_mov_b32_e32 v8, 4
	v_lshlrev_b32_sdwa v8, v8, v137 dst_sel:DWORD dst_unused:UNUSED_PAD src0_sel:DWORD src1_sel:BYTE_0
	global_load_dwordx4 v[76:79], v8, s[4:5] offset:320
	ds_read2_b64 v[82:85], v114 offset0:62 offset1:197
	ds_read2_b64 v[86:89], v119 offset0:68 offset1:203
	s_mov_b32 s2, 0x3f5db3d7
	s_movk_i32 s6, 0x4b0
	s_waitcnt vmcnt(8) lgkmcnt(1)
	v_pk_mul_f32 v[10:11], v[84:85], v[0:1] op_sel:[0,1]
	s_nop 0
	v_pk_fma_f32 v[8:9], v[84:85], v[0:1], v[10:11] op_sel:[0,0,1] op_sel_hi:[1,1,0]
	v_pk_fma_f32 v[10:11], v[84:85], v[0:1], v[10:11] op_sel:[0,0,1] op_sel_hi:[1,0,0] neg_lo:[0,0,1] neg_hi:[0,0,1]
	v_mov_b32_e32 v0, v3
	s_waitcnt lgkmcnt(0)
	v_pk_mul_f32 v[44:45], v[88:89], v[0:1] op_sel_hi:[1,0]
	s_waitcnt vmcnt(7)
	v_pk_mul_f32 v[84:85], v[82:83], v[4:5] op_sel:[0,1]
	v_pk_fma_f32 v[0:1], v[88:89], v[2:3], v[44:45] op_sel:[0,0,1] op_sel_hi:[1,1,0]
	v_pk_fma_f32 v[44:45], v[88:89], v[2:3], v[44:45] op_sel:[0,0,1] op_sel_hi:[1,0,0] neg_lo:[0,0,1] neg_hi:[0,0,1]
	v_pk_fma_f32 v[2:3], v[82:83], v[4:5], v[84:85] op_sel:[0,0,1] op_sel_hi:[1,1,0]
	v_pk_fma_f32 v[90:91], v[82:83], v[4:5], v[84:85] op_sel:[0,0,1] op_sel_hi:[1,0,0] neg_lo:[0,0,1] neg_hi:[0,0,1]
	v_mov_b32_e32 v4, v7
	ds_read2_b64 v[82:85], v80 offset0:112 offset1:247
	v_pk_mul_f32 v[88:89], v[86:87], v[4:5] op_sel_hi:[1,0]
	v_lshlrev_b32_sdwa v1, v14, v137 dst_sel:DWORD dst_unused:UNUSED_PAD src0_sel:DWORD src1_sel:BYTE_0
	v_pk_fma_f32 v[4:5], v[86:87], v[6:7], v[88:89] op_sel:[0,0,1] op_sel_hi:[1,1,0]
	v_pk_fma_f32 v[6:7], v[86:87], v[6:7], v[88:89] op_sel:[0,0,1] op_sel_hi:[1,0,0] neg_lo:[0,0,1] neg_hi:[0,0,1]
	ds_read2_b64 v[86:89], v112 offset0:54 offset1:189
	s_waitcnt lgkmcnt(1)
	v_pk_mul_f32 v[92:93], v[84:85], v[28:29] op_sel:[0,1]
	v_mov_b32_e32 v6, v31
	v_pk_fma_f32 v[94:95], v[84:85], v[28:29], v[92:93] op_sel:[0,0,1] op_sel_hi:[1,1,0]
	v_pk_fma_f32 v[84:85], v[84:85], v[28:29], v[92:93] op_sel:[0,0,1] op_sel_hi:[1,0,0] neg_lo:[0,0,1] neg_hi:[0,0,1]
	s_waitcnt lgkmcnt(0)
	v_pk_mul_f32 v[28:29], v[88:89], v[6:7] op_sel_hi:[1,0]
	s_waitcnt vmcnt(6)
	v_mov_b32_e32 v6, v35
	v_pk_fma_f32 v[92:93], v[88:89], v[30:31], v[28:29] op_sel:[0,0,1] op_sel_hi:[1,1,0]
	v_pk_fma_f32 v[88:89], v[88:89], v[30:31], v[28:29] op_sel:[0,0,1] op_sel_hi:[1,0,0] neg_lo:[0,0,1] neg_hi:[0,0,1]
	v_pk_mul_f32 v[28:29], v[82:83], v[32:33] op_sel:[0,1]
	v_mul_u32_u24_e32 v3, 0x4b0, v136
	v_pk_fma_f32 v[96:97], v[82:83], v[32:33], v[28:29] op_sel:[0,0,1] op_sel_hi:[1,1,0]
	v_pk_fma_f32 v[82:83], v[82:83], v[32:33], v[28:29] op_sel:[0,0,1] op_sel_hi:[1,0,0] neg_lo:[0,0,1] neg_hi:[0,0,1]
	ds_read2_b64 v[28:31], v116 offset0:98 offset1:233
	v_pk_mul_f32 v[32:33], v[86:87], v[6:7] op_sel_hi:[1,0]
	s_waitcnt vmcnt(5)
	v_mov_b32_e32 v6, v39
	v_pk_fma_f32 v[98:99], v[86:87], v[34:35], v[32:33] op_sel:[0,0,1] op_sel_hi:[1,1,0]
	v_pk_fma_f32 v[86:87], v[86:87], v[34:35], v[32:33] op_sel:[0,0,1] op_sel_hi:[1,0,0] neg_lo:[0,0,1] neg_hi:[0,0,1]
	ds_read2_b64 v[32:35], v115 offset0:40 offset1:175
	s_waitcnt lgkmcnt(1)
	v_pk_mul_f32 v[100:101], v[30:31], v[36:37] op_sel:[0,1]
	v_add3_u32 v1, 0, v3, v1
	v_pk_fma_f32 v[102:103], v[30:31], v[36:37], v[100:101] op_sel:[0,0,1] op_sel_hi:[1,1,0]
	v_pk_fma_f32 v[36:37], v[30:31], v[36:37], v[100:101] op_sel:[0,0,1] op_sel_hi:[1,0,0] neg_lo:[0,0,1] neg_hi:[0,0,1]
	s_waitcnt lgkmcnt(0)
	v_pk_mul_f32 v[30:31], v[34:35], v[6:7] op_sel_hi:[1,0]
	s_waitcnt vmcnt(4)
	v_mov_b32_e32 v6, v43
	v_pk_fma_f32 v[100:101], v[34:35], v[38:39], v[30:31] op_sel:[0,0,1] op_sel_hi:[1,1,0]
	v_pk_fma_f32 v[38:39], v[34:35], v[38:39], v[30:31] op_sel:[0,0,1] op_sel_hi:[1,0,0] neg_lo:[0,0,1] neg_hi:[0,0,1]
	v_pk_mul_f32 v[30:31], v[28:29], v[40:41] op_sel:[0,1]
	v_pk_mul_f32 v[34:35], v[32:33], v[6:7] op_sel_hi:[1,0]
	v_pk_fma_f32 v[104:105], v[28:29], v[40:41], v[30:31] op_sel:[0,0,1] op_sel_hi:[1,1,0]
	v_pk_fma_f32 v[40:41], v[28:29], v[40:41], v[30:31] op_sel:[0,0,1] op_sel_hi:[1,0,0] neg_lo:[0,0,1] neg_hi:[0,0,1]
	ds_read2_b64 v[28:31], v117 offset0:84 offset1:219
	v_pk_fma_f32 v[106:107], v[32:33], v[42:43], v[34:35] op_sel:[0,0,1] op_sel_hi:[1,1,0]
	v_pk_fma_f32 v[42:43], v[32:33], v[42:43], v[34:35] op_sel:[0,0,1] op_sel_hi:[1,0,0] neg_lo:[0,0,1] neg_hi:[0,0,1]
	ds_read2_b64 v[32:35], v120 offset0:26 offset1:161
	s_waitcnt vmcnt(3)
	v_mov_b32_e32 v6, v51
	s_waitcnt lgkmcnt(1)
	v_pk_mul_f32 v[108:109], v[30:31], v[48:49] op_sel:[0,1]
	v_lshlrev_b32_e32 v3, 3, v155
	v_pk_fma_f32 v[122:123], v[30:31], v[48:49], v[108:109] op_sel:[0,0,1] op_sel_hi:[1,1,0]
	v_pk_fma_f32 v[48:49], v[30:31], v[48:49], v[108:109] op_sel:[0,0,1] op_sel_hi:[1,0,0] neg_lo:[0,0,1] neg_hi:[0,0,1]
	s_waitcnt lgkmcnt(0)
	v_pk_mul_f32 v[30:31], v[34:35], v[6:7] op_sel_hi:[1,0]
	s_waitcnt vmcnt(2)
	v_mov_b32_e32 v6, v55
	v_pk_fma_f32 v[108:109], v[34:35], v[50:51], v[30:31] op_sel:[0,0,1] op_sel_hi:[1,1,0]
	v_pk_fma_f32 v[50:51], v[34:35], v[50:51], v[30:31] op_sel:[0,0,1] op_sel_hi:[1,0,0] neg_lo:[0,0,1] neg_hi:[0,0,1]
	v_pk_mul_f32 v[30:31], v[28:29], v[52:53] op_sel:[0,1]
	v_pk_mul_f32 v[34:35], v[32:33], v[6:7] op_sel_hi:[1,0]
	v_pk_fma_f32 v[124:125], v[28:29], v[52:53], v[30:31] op_sel:[0,0,1] op_sel_hi:[1,1,0]
	v_pk_fma_f32 v[52:53], v[28:29], v[52:53], v[30:31] op_sel:[0,0,1] op_sel_hi:[1,0,0] neg_lo:[0,0,1] neg_hi:[0,0,1]
	ds_read2_b64 v[28:31], v118 offset0:70 offset1:205
	v_pk_fma_f32 v[126:127], v[32:33], v[54:55], v[34:35] op_sel:[0,0,1] op_sel_hi:[1,1,0]
	v_pk_fma_f32 v[54:55], v[32:33], v[54:55], v[34:35] op_sel:[0,0,1] op_sel_hi:[1,0,0] neg_lo:[0,0,1] neg_hi:[0,0,1]
	ds_read2_b64 v[32:35], v113 offset0:12 offset1:147
	s_waitcnt vmcnt(1)
	v_mov_b32_e32 v6, v59
	s_waitcnt lgkmcnt(1)
	v_pk_mul_f32 v[128:129], v[30:31], v[56:57] op_sel:[0,1]
	v_mov_b32_e32 v125, v53
	v_pk_fma_f32 v[130:131], v[30:31], v[56:57], v[128:129] op_sel:[0,0,1] op_sel_hi:[1,1,0]
	v_pk_fma_f32 v[56:57], v[30:31], v[56:57], v[128:129] op_sel:[0,0,1] op_sel_hi:[1,0,0] neg_lo:[0,0,1] neg_hi:[0,0,1]
	s_waitcnt lgkmcnt(0)
	v_pk_mul_f32 v[30:31], v[34:35], v[6:7] op_sel_hi:[1,0]
	s_waitcnt vmcnt(0)
	v_pk_mul_f32 v[132:133], v[78:79], v[32:33] op_sel:[0,1]
	v_pk_fma_f32 v[128:129], v[34:35], v[58:59], v[30:31] op_sel:[0,0,1] op_sel_hi:[1,1,0]
	v_pk_fma_f32 v[58:59], v[34:35], v[58:59], v[30:31] op_sel:[0,0,1] op_sel_hi:[1,0,0] neg_lo:[0,0,1] neg_hi:[0,0,1]
	v_pk_mul_f32 v[30:31], v[76:77], v[28:29] op_sel:[0,1]
	v_pk_fma_f32 v[134:135], v[78:79], v[32:33], v[132:133] op_sel:[0,0,1] op_sel_hi:[1,1,0]
	v_pk_fma_f32 v[34:35], v[76:77], v[28:29], v[30:31] op_sel:[0,0,1] op_sel_hi:[1,1,0]
	v_pk_fma_f32 v[76:77], v[76:77], v[28:29], v[30:31] op_sel:[0,0,1] op_sel_hi:[1,0,0] neg_lo:[1,0,0] neg_hi:[1,0,0]
	ds_read2_b64 v[28:31], v110 offset1:135
	v_pk_fma_f32 v[32:33], v[78:79], v[32:33], v[132:133] op_sel:[0,0,1] op_sel_hi:[1,0,0] neg_lo:[1,0,0] neg_hi:[1,0,0]
	v_mov_b32_e32 v35, v77
	v_mov_b32_e32 v135, v33
	;; [unrolled: 1-line block ×3, first 2 shown]
	s_waitcnt lgkmcnt(0)
	v_pk_add_f32 v[32:33], v[28:29], v[34:35]
	v_mov_b32_e32 v129, v59
	v_pk_add_f32 v[76:77], v[32:33], v[134:135]
	v_pk_add_f32 v[32:33], v[34:35], v[134:135]
	v_pk_add_f32 v[34:35], v[34:35], v[134:135] neg_lo:[0,1] neg_hi:[0,1]
	v_pk_fma_f32 v[28:29], v[32:33], 0.5, v[28:29] op_sel_hi:[1,0,1] neg_lo:[1,0,0] neg_hi:[1,0,0]
	v_pk_mul_f32 v[32:33], v[34:35], s[2:3] op_sel_hi:[1,0]
	v_pk_add_f32 v[56:57], v[130:131], v[128:129] neg_lo:[0,1] neg_hi:[0,1]
	v_pk_add_f32 v[78:79], v[28:29], v[32:33] op_sel:[0,1] op_sel_hi:[1,0] neg_lo:[0,1] neg_hi:[0,1]
	v_pk_add_f32 v[28:29], v[28:29], v[32:33] op_sel:[0,1] op_sel_hi:[1,0]
	ds_read_b64 v[132:133], v73
	ds_read_b64 v[134:135], v71
	;; [unrolled: 1-line block ×6, first 2 shown]
	ds_read2_b64 v[32:35], v75 offset0:42 offset1:177
	v_mov_b32_e32 v145, v29
	v_mov_b32_e32 v29, v79
	s_waitcnt lgkmcnt(0)
	s_barrier
	ds_write_b64 v1, v[28:29] offset:800
	v_pk_add_f32 v[28:29], v[130:131], v[128:129]
	v_mov_b32_e32 v144, v78
	v_pk_fma_f32 v[28:29], v[28:29], 0.5, v[30:31] op_sel_hi:[1,0,1] neg_lo:[1,0,0] neg_hi:[1,0,0]
	v_pk_mul_f32 v[56:57], v[56:57], s[2:3] op_sel_hi:[1,0]
	ds_write2_b64 v1, v[76:77], v[144:145] offset1:50
	v_pk_add_f32 v[30:31], v[30:31], v[130:131]
	v_pk_add_f32 v[58:59], v[28:29], v[56:57] op_sel:[0,1] op_sel_hi:[1,0] neg_lo:[0,1] neg_hi:[0,1]
	v_pk_add_f32 v[28:29], v[28:29], v[56:57] op_sel:[0,1] op_sel_hi:[1,0]
	v_mul_u32_u24_e32 v1, 0x4b0, v154
	v_pk_add_f32 v[30:31], v[30:31], v[128:129]
	v_add3_u32 v1, 0, v1, v3
	v_mov_b32_e32 v56, v58
	v_mov_b32_e32 v57, v29
	;; [unrolled: 1-line block ×4, first 2 shown]
	ds_write2_b64 v1, v[30:31], v[56:57] offset1:50
	ds_write_b64 v1, v[28:29] offset:800
	v_pk_add_f32 v[28:29], v[124:125], v[126:127]
	v_pk_add_f32 v[52:53], v[124:125], v[126:127] neg_lo:[0,1] neg_hi:[0,1]
	v_perm_b32 v1, v150, v152, s3
	v_pk_fma_f32 v[28:29], v[28:29], 0.5, v[142:143] op_sel_hi:[1,0,1] neg_lo:[1,0,0] neg_hi:[1,0,0]
	v_pk_mul_f32 v[52:53], v[52:53], s[2:3] op_sel_hi:[1,0]
	v_pk_mul_lo_u16 v1, v1, s6 op_sel_hi:[1,0]
	v_pk_add_f32 v[54:55], v[28:29], v[52:53] op_sel:[0,1] op_sel_hi:[1,0] neg_lo:[0,1] neg_hi:[0,1]
	v_pk_add_f32 v[28:29], v[28:29], v[52:53] op_sel:[0,1] op_sel_hi:[1,0]
	v_lshlrev_b32_e32 v3, 3, v153
	v_and_b32_e32 v5, 0xfff0, v1
	v_add3_u32 v3, 0, v5, v3
	v_mov_b32_e32 v53, v29
	v_mov_b32_e32 v29, v55
	;; [unrolled: 1-line block ×4, first 2 shown]
	v_pk_add_f32 v[30:31], v[142:143], v[124:125]
	ds_write_b64 v3, v[28:29] offset:800
	v_pk_add_f32 v[28:29], v[122:123], v[108:109]
	v_pk_add_f32 v[48:49], v[122:123], v[108:109] neg_lo:[0,1] neg_hi:[0,1]
	v_pk_add_f32 v[30:31], v[30:31], v[126:127]
	v_mov_b32_e32 v52, v54
	v_pk_fma_f32 v[28:29], v[28:29], 0.5, v[140:141] op_sel_hi:[1,0,1] neg_lo:[1,0,0] neg_hi:[1,0,0]
	v_pk_mul_f32 v[48:49], v[48:49], s[2:3] op_sel_hi:[1,0]
	ds_write2_b64 v3, v[30:31], v[52:53] offset1:50
	v_pk_add_f32 v[30:31], v[140:141], v[122:123]
	v_pk_add_f32 v[50:51], v[28:29], v[48:49] op_sel:[0,1] op_sel_hi:[1,0] neg_lo:[0,1] neg_hi:[0,1]
	v_pk_add_f32 v[28:29], v[28:29], v[48:49] op_sel:[0,1] op_sel_hi:[1,0]
	v_lshrrev_b32_e32 v1, 16, v1
	v_lshlrev_b32_e32 v3, 3, v151
	v_pk_add_f32 v[30:31], v[30:31], v[108:109]
	v_add3_u32 v1, 0, v1, v3
	v_mov_b32_e32 v48, v50
	v_mov_b32_e32 v49, v29
	;; [unrolled: 1-line block ×5, first 2 shown]
	ds_write2_b64 v1, v[30:31], v[48:49] offset1:50
	ds_write_b64 v1, v[28:29] offset:800
	v_pk_add_f32 v[28:29], v[104:105], v[106:107]
	v_pk_add_f32 v[40:41], v[104:105], v[106:107] neg_lo:[0,1] neg_hi:[0,1]
	v_perm_b32 v1, v146, v148, s3
	v_pk_fma_f32 v[28:29], v[28:29], 0.5, v[138:139] op_sel_hi:[1,0,1] neg_lo:[1,0,0] neg_hi:[1,0,0]
	v_pk_mul_f32 v[40:41], v[40:41], s[2:3] op_sel_hi:[1,0]
	v_pk_mul_lo_u16 v1, v1, s6 op_sel_hi:[1,0]
	v_pk_add_f32 v[42:43], v[28:29], v[40:41] op_sel:[0,1] op_sel_hi:[1,0] neg_lo:[0,1] neg_hi:[0,1]
	v_pk_add_f32 v[28:29], v[28:29], v[40:41] op_sel:[0,1] op_sel_hi:[1,0]
	v_lshlrev_b32_e32 v3, 3, v149
	v_and_b32_e32 v5, 0xfff0, v1
	v_add3_u32 v3, 0, v5, v3
	v_mov_b32_e32 v41, v29
	v_mov_b32_e32 v29, v43
	;; [unrolled: 1-line block ×4, first 2 shown]
	v_pk_add_f32 v[30:31], v[138:139], v[104:105]
	ds_write_b64 v3, v[28:29] offset:800
	v_pk_add_f32 v[28:29], v[102:103], v[100:101]
	v_pk_add_f32 v[36:37], v[102:103], v[100:101] neg_lo:[0,1] neg_hi:[0,1]
	v_pk_add_f32 v[30:31], v[30:31], v[106:107]
	v_mov_b32_e32 v40, v42
	v_pk_fma_f32 v[28:29], v[28:29], 0.5, v[136:137] op_sel_hi:[1,0,1] neg_lo:[1,0,0] neg_hi:[1,0,0]
	v_pk_mul_f32 v[36:37], v[36:37], s[2:3] op_sel_hi:[1,0]
	ds_write2_b64 v3, v[30:31], v[40:41] offset1:50
	v_pk_add_f32 v[30:31], v[136:137], v[102:103]
	v_pk_add_f32 v[38:39], v[28:29], v[36:37] op_sel:[0,1] op_sel_hi:[1,0] neg_lo:[0,1] neg_hi:[0,1]
	v_pk_add_f32 v[28:29], v[28:29], v[36:37] op_sel:[0,1] op_sel_hi:[1,0]
	v_lshrrev_b32_e32 v1, 16, v1
	v_lshlrev_b32_e32 v3, 3, v147
	v_pk_add_f32 v[30:31], v[30:31], v[100:101]
	v_add3_u32 v1, 0, v1, v3
	v_mov_b32_e32 v36, v38
	v_mov_b32_e32 v37, v29
	;; [unrolled: 1-line block ×4, first 2 shown]
	ds_write2_b64 v1, v[30:31], v[36:37] offset1:50
	v_mov_b32_e32 v29, v39
	v_pk_add_f32 v[30:31], v[96:97], v[98:99]
	v_pk_add_f32 v[36:37], v[96:97], v[98:99] neg_lo:[0,1] neg_hi:[0,1]
	ds_write_b64 v1, v[28:29] offset:800
	v_pk_add_f32 v[28:29], v[32:33], v[96:97]
	v_pk_fma_f32 v[30:31], v[30:31], 0.5, v[32:33] op_sel_hi:[1,0,1] neg_lo:[1,0,0] neg_hi:[1,0,0]
	v_pk_mul_f32 v[32:33], v[36:37], s[2:3] op_sel_hi:[1,0]
	v_mul_u32_u24_e32 v1, 0x4b0, v81
	v_pk_add_f32 v[36:37], v[30:31], v[32:33] op_sel:[0,1] op_sel_hi:[1,0] neg_lo:[0,1] neg_hi:[0,1]
	v_pk_add_f32 v[30:31], v[30:31], v[32:33] op_sel:[0,1] op_sel_hi:[1,0]
	v_lshlrev_b32_e32 v3, 3, v121
	v_pk_add_f32 v[28:29], v[28:29], v[98:99]
	v_add3_u32 v1, 0, v1, v3
	v_mov_b32_e32 v32, v36
	v_mov_b32_e32 v33, v31
	;; [unrolled: 1-line block ×4, first 2 shown]
	ds_write2_b64 v1, v[28:29], v[32:33] offset1:50
	v_pk_add_f32 v[28:29], v[94:95], v[92:93]
	v_pk_add_f32 v[32:33], v[94:95], v[92:93] neg_lo:[0,1] neg_hi:[0,1]
	v_mov_b32_e32 v5, v7
	v_perm_b32 v7, v24, v25, s3
	v_mov_b32_e32 v31, v37
	v_pk_fma_f32 v[28:29], v[28:29], 0.5, v[34:35] op_sel_hi:[1,0,1] neg_lo:[1,0,0] neg_hi:[1,0,0]
	v_pk_mul_f32 v[32:33], v[32:33], s[2:3] op_sel_hi:[1,0]
	v_pk_mul_lo_u16 v7, v7, s6 op_sel_hi:[1,0]
	ds_write_b64 v1, v[30:31] offset:800
	v_pk_add_f32 v[30:31], v[34:35], v[94:95]
	v_pk_add_f32 v[34:35], v[28:29], v[32:33] op_sel:[0,1] op_sel_hi:[1,0] neg_lo:[0,1] neg_hi:[0,1]
	v_pk_add_f32 v[28:29], v[28:29], v[32:33] op_sel:[0,1] op_sel_hi:[1,0]
	v_mul_u32_u24_e32 v1, 0x4b0, v27
	v_lshlrev_b32_e32 v3, 3, v47
	v_mov_b32_e32 v9, v11
	v_lshlrev_b32_e32 v10, 3, v26
	v_and_b32_e32 v11, 0xfff0, v7
	v_pk_add_f32 v[30:31], v[30:31], v[92:93]
	v_add3_u32 v6, 0, v1, v3
	v_mov_b32_e32 v32, v34
	v_mov_b32_e32 v33, v29
	;; [unrolled: 1-line block ×4, first 2 shown]
	v_add3_u32 v14, 0, v11, v10
	v_lshrrev_b32_e32 v7, 16, v7
	v_lshlrev_b32_e32 v10, 3, v23
	ds_write2_b64 v6, v[30:31], v[32:33] offset1:50
	v_add3_u32 v23, 0, v7, v10
	ds_write_b64 v6, v[28:29] offset:800
	v_pk_add_f32 v[6:7], v[2:3], v[4:5]
	v_pk_add_f32 v[10:11], v[134:135], v[2:3]
	v_pk_add_f32 v[2:3], v[2:3], v[4:5] neg_lo:[0,1] neg_hi:[0,1]
	v_pk_fma_f32 v[6:7], v[6:7], 0.5, v[134:135] op_sel_hi:[1,0,1] neg_lo:[1,0,0] neg_hi:[1,0,0]
	v_pk_mul_f32 v[2:3], v[2:3], s[2:3] op_sel_hi:[1,0]
	v_pk_add_f32 v[10:11], v[10:11], v[4:5]
	v_pk_add_f32 v[4:5], v[6:7], v[2:3] op_sel:[0,1] op_sel_hi:[1,0] neg_lo:[0,1] neg_hi:[0,1]
	v_pk_add_f32 v[2:3], v[6:7], v[2:3] op_sel:[0,1] op_sel_hi:[1,0]
	v_mov_b32_e32 v6, v4
	v_mov_b32_e32 v7, v3
	;; [unrolled: 1-line block ×3, first 2 shown]
	ds_write2_b64 v14, v[10:11], v[6:7] offset1:50
	v_pk_add_f32 v[6:7], v[132:133], v[8:9]
	v_mov_b32_e32 v3, v5
	v_pk_add_f32 v[6:7], v[6:7], v[0:1]
	ds_write_b64 v14, v[2:3] offset:800
	v_pk_add_f32 v[2:3], v[8:9], v[0:1]
	v_pk_add_f32 v[0:1], v[8:9], v[0:1] neg_lo:[0,1] neg_hi:[0,1]
	v_pk_fma_f32 v[2:3], v[2:3], 0.5, v[132:133] op_sel_hi:[1,0,1] neg_lo:[1,0,0] neg_hi:[1,0,0]
	v_pk_mul_f32 v[0:1], v[0:1], s[2:3] op_sel_hi:[1,0]
	s_mov_b32 s6, 0x91a3
	v_pk_add_f32 v[4:5], v[2:3], v[0:1] op_sel:[0,1] op_sel_hi:[1,0] neg_lo:[0,1] neg_hi:[0,1]
	v_pk_add_f32 v[0:1], v[2:3], v[0:1] op_sel:[0,1] op_sel_hi:[1,0]
	v_mov_b32_e32 v2, v4
	v_mov_b32_e32 v3, v1
	;; [unrolled: 1-line block ×3, first 2 shown]
	ds_write_b64 v23, v[0:1] offset:800
	v_mul_u32_u24_e32 v0, 0xda75, v22
	v_mul_u32_u24_e32 v4, 0xda75, v12
	v_lshrrev_b32_e32 v0, 22, v0
	v_lshrrev_b32_e32 v24, 22, v4
	v_mul_lo_u16_e32 v0, 0x96, v0
	v_mul_lo_u16_e32 v4, 0x96, v24
	ds_write2_b64 v23, v[6:7], v[2:3] offset1:50
	v_sub_u16_e32 v22, v72, v0
	v_sub_u16_e32 v23, v70, v4
	v_lshlrev_b32_e32 v0, 4, v22
	v_lshlrev_b32_e32 v4, 4, v23
	s_waitcnt lgkmcnt(0)
	s_barrier
	global_load_dwordx4 v[0:3], v0, s[4:5] offset:1120
	v_mov_b32_e32 v5, v65
	global_load_dwordx4 v[26:29], v4, s[4:5] offset:1120
	v_mul_u32_u24_e32 v4, 0xda75, v13
	v_lshrrev_b32_e32 v25, 22, v4
	v_mul_lo_u16_e32 v4, 0x96, v25
	v_sub_u16_e32 v47, v20, v4
	v_lshlrev_b32_e32 v4, 4, v47
	global_load_dwordx4 v[30:33], v4, s[4:5] offset:1120
	v_mul_u32_u24_e32 v4, 0xda75, v16
	v_lshrrev_b32_e32 v81, 22, v4
	v_mul_lo_u16_e32 v4, 0x96, v81
	v_sub_u16_e32 v121, v21, v4
	v_lshlrev_b32_e32 v4, 4, v121
	;; [unrolled: 6-line block ×6, first 2 shown]
	global_load_dwordx4 v[52:55], v4, s[4:5] offset:1120
	v_lshlrev_b32_e32 v4, 1, v62
	v_lshl_add_u64 v[8:9], v[4:5], 3, s[4:5]
	v_add_u32_e32 v5, -15, v62
	v_cndmask_b32_e32 v5, v5, v46, vcc
	v_lshlrev_b32_e32 v6, 1, v5
	v_mov_b32_e32 v7, v65
	global_load_dwordx4 v[56:59], v[8:9], off offset:1120
	v_lshl_add_u64 v[6:7], v[6:7], 3, s[4:5]
	global_load_dwordx4 v[76:79], v[6:7], off offset:1120
	ds_read2_b64 v[10:13], v114 offset0:62 offset1:197
	ds_read2_b64 v[82:85], v119 offset0:68 offset1:203
	v_cmp_lt_u32_e32 vcc, 14, v62
	v_lshlrev_b32_e32 v64, 1, v64
	s_waitcnt vmcnt(9) lgkmcnt(1)
	v_pk_mul_f32 v[14:15], v[12:13], v[0:1] op_sel:[0,1]
	s_nop 0
	v_pk_fma_f32 v[6:7], v[12:13], v[0:1], v[14:15] op_sel:[0,0,1] op_sel_hi:[1,1,0]
	v_pk_fma_f32 v[12:13], v[12:13], v[0:1], v[14:15] op_sel:[0,0,1] op_sel_hi:[1,0,0] neg_lo:[0,0,1] neg_hi:[0,0,1]
	v_mov_b32_e32 v0, v3
	s_waitcnt lgkmcnt(0)
	v_pk_mul_f32 v[14:15], v[84:85], v[0:1] op_sel_hi:[1,0]
	s_waitcnt vmcnt(8)
	v_pk_mul_f32 v[16:17], v[10:11], v[26:27] op_sel:[0,1]
	v_pk_fma_f32 v[0:1], v[84:85], v[2:3], v[14:15] op_sel:[0,0,1] op_sel_hi:[1,1,0]
	v_pk_fma_f32 v[14:15], v[84:85], v[2:3], v[14:15] op_sel:[0,0,1] op_sel_hi:[1,0,0] neg_lo:[0,0,1] neg_hi:[0,0,1]
	v_pk_fma_f32 v[2:3], v[10:11], v[26:27], v[16:17] op_sel:[0,0,1] op_sel_hi:[1,1,0]
	v_pk_fma_f32 v[16:17], v[10:11], v[26:27], v[16:17] op_sel:[0,0,1] op_sel_hi:[1,0,0] neg_lo:[0,0,1] neg_hi:[0,0,1]
	v_mov_b32_e32 v10, v29
	ds_read2_b64 v[84:87], v80 offset0:112 offset1:247
	v_pk_mul_f32 v[18:19], v[82:83], v[10:11] op_sel_hi:[1,0]
	s_waitcnt vmcnt(7)
	v_mov_b32_e32 v12, v33
	v_pk_fma_f32 v[10:11], v[82:83], v[28:29], v[18:19] op_sel:[0,0,1] op_sel_hi:[1,1,0]
	v_pk_fma_f32 v[18:19], v[82:83], v[28:29], v[18:19] op_sel:[0,0,1] op_sel_hi:[1,0,0] neg_lo:[0,0,1] neg_hi:[0,0,1]
	ds_read2_b64 v[26:29], v112 offset0:54 offset1:189
	s_waitcnt lgkmcnt(1)
	v_pk_mul_f32 v[82:83], v[86:87], v[30:31] op_sel:[0,1]
	v_add_u32_e32 v14, 0x2c00, v110
	v_pk_fma_f32 v[88:89], v[86:87], v[30:31], v[82:83] op_sel:[0,0,1] op_sel_hi:[1,1,0]
	v_pk_fma_f32 v[82:83], v[86:87], v[30:31], v[82:83] op_sel:[0,0,1] op_sel_hi:[1,0,0] neg_lo:[0,0,1] neg_hi:[0,0,1]
	s_waitcnt lgkmcnt(0)
	v_pk_mul_f32 v[30:31], v[28:29], v[12:13] op_sel_hi:[1,0]
	s_waitcnt vmcnt(6)
	v_mov_b32_e32 v12, v37
	v_pk_fma_f32 v[86:87], v[28:29], v[32:33], v[30:31] op_sel:[0,0,1] op_sel_hi:[1,1,0]
	v_pk_fma_f32 v[90:91], v[28:29], v[32:33], v[30:31] op_sel:[0,0,1] op_sel_hi:[1,0,0] neg_lo:[0,0,1] neg_hi:[0,0,1]
	v_pk_mul_f32 v[28:29], v[84:85], v[34:35] op_sel:[0,1]
	v_pk_mul_f32 v[32:33], v[26:27], v[12:13] op_sel_hi:[1,0]
	v_pk_fma_f32 v[92:93], v[84:85], v[34:35], v[28:29] op_sel:[0,0,1] op_sel_hi:[1,1,0]
	v_pk_fma_f32 v[84:85], v[84:85], v[34:35], v[28:29] op_sel:[0,0,1] op_sel_hi:[1,0,0] neg_lo:[0,0,1] neg_hi:[0,0,1]
	ds_read2_b64 v[28:31], v116 offset0:98 offset1:233
	v_pk_fma_f32 v[94:95], v[26:27], v[36:37], v[32:33] op_sel:[0,0,1] op_sel_hi:[1,1,0]
	v_pk_fma_f32 v[36:37], v[26:27], v[36:37], v[32:33] op_sel:[0,0,1] op_sel_hi:[1,0,0] neg_lo:[0,0,1] neg_hi:[0,0,1]
	ds_read2_b64 v[32:35], v115 offset0:40 offset1:175
	s_waitcnt vmcnt(5)
	v_mov_b32_e32 v12, v41
	s_waitcnt lgkmcnt(1)
	v_pk_mul_f32 v[26:27], v[30:31], v[38:39] op_sel:[0,1]
	v_mov_b32_e32 v1, 0xe10
	v_pk_fma_f32 v[96:97], v[30:31], v[38:39], v[26:27] op_sel:[0,0,1] op_sel_hi:[1,1,0]
	v_pk_fma_f32 v[38:39], v[30:31], v[38:39], v[26:27] op_sel:[0,0,1] op_sel_hi:[1,0,0] neg_lo:[0,0,1] neg_hi:[0,0,1]
	s_waitcnt lgkmcnt(0)
	v_pk_mul_f32 v[26:27], v[34:35], v[12:13] op_sel_hi:[1,0]
	s_waitcnt vmcnt(4)
	v_mov_b32_e32 v12, v45
	v_pk_fma_f32 v[98:99], v[34:35], v[40:41], v[26:27] op_sel:[0,0,1] op_sel_hi:[1,1,0]
	v_pk_fma_f32 v[34:35], v[34:35], v[40:41], v[26:27] op_sel:[0,0,1] op_sel_hi:[1,0,0] neg_lo:[0,0,1] neg_hi:[0,0,1]
	v_pk_mul_f32 v[26:27], v[28:29], v[42:43] op_sel:[0,1]
	v_pk_mul_f32 v[30:31], v[32:33], v[12:13] op_sel_hi:[1,0]
	v_pk_fma_f32 v[40:41], v[28:29], v[42:43], v[26:27] op_sel:[0,0,1] op_sel_hi:[1,1,0]
	v_pk_fma_f32 v[42:43], v[28:29], v[42:43], v[26:27] op_sel:[0,0,1] op_sel_hi:[1,0,0] neg_lo:[0,0,1] neg_hi:[0,0,1]
	ds_read2_b64 v[26:29], v117 offset0:84 offset1:219
	v_pk_fma_f32 v[100:101], v[32:33], v[44:45], v[30:31] op_sel:[0,0,1] op_sel_hi:[1,1,0]
	v_pk_fma_f32 v[44:45], v[32:33], v[44:45], v[30:31] op_sel:[0,0,1] op_sel_hi:[1,0,0] neg_lo:[0,0,1] neg_hi:[0,0,1]
	ds_read2_b64 v[30:33], v120 offset0:26 offset1:161
	s_waitcnt vmcnt(3)
	v_mov_b32_e32 v12, v51
	s_waitcnt lgkmcnt(1)
	v_pk_mul_f32 v[102:103], v[28:29], v[48:49] op_sel:[0,1]
	v_cndmask_b32_e32 v1, 0, v1, vcc
	v_pk_fma_f32 v[104:105], v[28:29], v[48:49], v[102:103] op_sel:[0,0,1] op_sel_hi:[1,1,0]
	v_pk_fma_f32 v[48:49], v[28:29], v[48:49], v[102:103] op_sel:[0,0,1] op_sel_hi:[1,0,0] neg_lo:[0,0,1] neg_hi:[0,0,1]
	s_waitcnt lgkmcnt(0)
	v_pk_mul_f32 v[28:29], v[32:33], v[12:13] op_sel_hi:[1,0]
	s_waitcnt vmcnt(2)
	v_mov_b32_e32 v12, v55
	v_pk_fma_f32 v[102:103], v[32:33], v[50:51], v[28:29] op_sel:[0,0,1] op_sel_hi:[1,1,0]
	v_pk_fma_f32 v[50:51], v[32:33], v[50:51], v[28:29] op_sel:[0,0,1] op_sel_hi:[1,0,0] neg_lo:[0,0,1] neg_hi:[0,0,1]
	v_pk_mul_f32 v[28:29], v[26:27], v[52:53] op_sel:[0,1]
	v_lshlrev_b32_e32 v3, 3, v5
	v_pk_fma_f32 v[106:107], v[26:27], v[52:53], v[28:29] op_sel:[0,0,1] op_sel_hi:[1,1,0]
	v_pk_fma_f32 v[52:53], v[26:27], v[52:53], v[28:29] op_sel:[0,0,1] op_sel_hi:[1,0,0] neg_lo:[0,0,1] neg_hi:[0,0,1]
	v_pk_mul_f32 v[26:27], v[30:31], v[12:13] op_sel_hi:[1,0]
	s_waitcnt vmcnt(0)
	v_mov_b32_e32 v12, v79
	v_pk_fma_f32 v[108:109], v[30:31], v[54:55], v[26:27] op_sel:[0,0,1] op_sel_hi:[1,1,0]
	v_pk_fma_f32 v[54:55], v[30:31], v[54:55], v[26:27] op_sel:[0,0,1] op_sel_hi:[1,0,0] neg_lo:[0,0,1] neg_hi:[0,0,1]
	ds_read_b64 v[30:31], v110 offset:10800
	ds_read2_b64 v[26:29], v113 offset0:12 offset1:147
	ds_read_b64 v[122:123], v111
	ds_read_b64 v[124:125], v69
	;; [unrolled: 1-line block ×3, first 2 shown]
	s_waitcnt lgkmcnt(4)
	v_pk_mul_f32 v[32:33], v[56:57], v[30:31] op_sel:[0,1]
	v_add3_u32 v1, 0, v1, v3
	v_pk_fma_f32 v[128:129], v[56:57], v[30:31], v[32:33] op_sel:[0,0,1] op_sel_hi:[1,1,0]
	v_pk_fma_f32 v[30:31], v[56:57], v[30:31], v[32:33] op_sel:[0,0,1] op_sel_hi:[1,0,0] neg_lo:[1,0,0] neg_hi:[1,0,0]
	s_waitcnt lgkmcnt(3)
	v_pk_mul_f32 v[32:33], v[58:59], v[26:27] op_sel:[0,1]
	v_mov_b32_e32 v129, v31
	v_pk_fma_f32 v[56:57], v[58:59], v[26:27], v[32:33] op_sel:[0,0,1] op_sel_hi:[1,1,0]
	v_pk_fma_f32 v[32:33], v[58:59], v[26:27], v[32:33] op_sel:[0,0,1] op_sel_hi:[1,0,0] neg_lo:[1,0,0] neg_hi:[1,0,0]
	ds_read2_b32 v[58:59], v14 offset0:154 offset1:155
	v_pk_mul_f32 v[26:27], v[28:29], v[12:13] op_sel_hi:[1,0]
	v_mov_b32_e32 v57, v33
	v_pk_fma_f32 v[130:131], v[28:29], v[78:79], v[26:27] op_sel:[0,0,1] op_sel_hi:[1,1,0]
	v_pk_fma_f32 v[78:79], v[28:29], v[78:79], v[26:27] op_sel:[0,0,1] op_sel_hi:[1,0,0] neg_lo:[0,0,1] neg_hi:[0,0,1]
	ds_read2_b64 v[26:29], v110 offset1:135
	s_waitcnt lgkmcnt(1)
	v_mov_b32_e32 v12, v59
	v_pk_add_f32 v[30:31], v[128:129], v[56:57]
	v_pk_add_f32 v[32:33], v[128:129], v[56:57] neg_lo:[0,1] neg_hi:[0,1]
	v_pk_mul_f32 v[132:133], v[12:13], v[76:77] op_sel_hi:[0,1]
	s_waitcnt lgkmcnt(0)
	v_pk_fma_f32 v[30:31], v[30:31], 0.5, v[26:27] op_sel_hi:[1,0,1] neg_lo:[1,0,0] neg_hi:[1,0,0]
	v_pk_mul_f32 v[32:33], v[32:33], s[2:3] op_sel_hi:[1,0]
	v_pk_fma_f32 v[134:135], v[76:77], v[58:59], v[132:133] op_sel:[0,0,1] op_sel_hi:[1,1,0]
	v_pk_fma_f32 v[58:59], v[76:77], v[58:59], v[132:133] op_sel:[0,0,1] op_sel_hi:[1,0,0] neg_lo:[1,0,0] neg_hi:[1,0,0]
	v_pk_add_f32 v[76:77], v[30:31], v[32:33] op_sel:[0,1] op_sel_hi:[1,0] neg_lo:[0,1] neg_hi:[0,1]
	v_pk_add_f32 v[132:133], v[30:31], v[32:33] op_sel:[0,1] op_sel_hi:[1,0]
	v_pk_add_f32 v[26:27], v[26:27], v[128:129]
	v_mov_b32_e32 v138, v76
	v_pk_add_f32 v[26:27], v[26:27], v[56:57]
	v_mov_b32_e32 v139, v133
	v_mov_b32_e32 v135, v59
	;; [unrolled: 1-line block ×3, first 2 shown]
	ds_read_b64 v[56:57], v73
	ds_read_b64 v[128:129], v71
	;; [unrolled: 1-line block ×3, first 2 shown]
	ds_read2_b64 v[30:33], v75 offset0:42 offset1:177
	s_waitcnt lgkmcnt(0)
	s_barrier
	ds_write2_b64 v110, v[26:27], v[138:139] offset1:150
	v_pk_add_f32 v[26:27], v[134:135], v[130:131]
	v_pk_add_f32 v[58:59], v[134:135], v[130:131] neg_lo:[0,1] neg_hi:[0,1]
	v_pk_fma_f32 v[26:27], v[26:27], 0.5, v[28:29] op_sel_hi:[1,0,1] neg_lo:[1,0,0] neg_hi:[1,0,0]
	v_pk_mul_f32 v[58:59], v[58:59], s[2:3] op_sel_hi:[1,0]
	v_mov_b32_e32 v133, v77
	v_pk_add_f32 v[76:77], v[26:27], v[58:59] op_sel:[0,1] op_sel_hi:[1,0] neg_lo:[0,1] neg_hi:[0,1]
	v_pk_add_f32 v[26:27], v[26:27], v[58:59] op_sel:[0,1] op_sel_hi:[1,0]
	v_mov_b32_e32 v107, v53
	v_mov_b32_e32 v59, v27
	;; [unrolled: 1-line block ×4, first 2 shown]
	v_pk_add_f32 v[28:29], v[28:29], v[134:135]
	ds_write_b64 v110, v[132:133] offset:2400
	ds_write_b64 v1, v[26:27] offset:2400
	v_pk_add_f32 v[26:27], v[106:107], v[108:109]
	v_pk_add_f32 v[52:53], v[106:107], v[108:109] neg_lo:[0,1] neg_hi:[0,1]
	v_pk_add_f32 v[28:29], v[28:29], v[130:131]
	v_mov_b32_e32 v58, v76
	v_pk_fma_f32 v[26:27], v[26:27], 0.5, v[122:123] op_sel_hi:[1,0,1] neg_lo:[1,0,0] neg_hi:[1,0,0]
	v_pk_mul_f32 v[52:53], v[52:53], s[2:3] op_sel_hi:[1,0]
	ds_write2_b64 v1, v[28:29], v[58:59] offset1:150
	v_pk_add_f32 v[54:55], v[26:27], v[52:53] op_sel:[0,1] op_sel_hi:[1,0] neg_lo:[0,1] neg_hi:[0,1]
	v_pk_add_f32 v[26:27], v[26:27], v[52:53] op_sel:[0,1] op_sel_hi:[1,0]
	v_mul_u32_u24_e32 v1, 0xe10, v146
	v_lshlrev_b32_e32 v3, 3, v147
	v_add3_u32 v1, 0, v1, v3
	v_mov_b32_e32 v53, v27
	v_mov_b32_e32 v27, v55
	;; [unrolled: 1-line block ×4, first 2 shown]
	v_pk_add_f32 v[28:29], v[122:123], v[106:107]
	ds_write_b64 v1, v[26:27] offset:2400
	v_pk_add_f32 v[26:27], v[104:105], v[102:103]
	v_pk_add_f32 v[48:49], v[104:105], v[102:103] neg_lo:[0,1] neg_hi:[0,1]
	v_pk_add_f32 v[28:29], v[28:29], v[108:109]
	v_mov_b32_e32 v52, v54
	v_pk_fma_f32 v[26:27], v[26:27], 0.5, v[126:127] op_sel_hi:[1,0,1] neg_lo:[1,0,0] neg_hi:[1,0,0]
	v_pk_mul_f32 v[48:49], v[48:49], s[2:3] op_sel_hi:[1,0]
	ds_write2_b64 v1, v[28:29], v[52:53] offset1:150
	v_pk_add_f32 v[28:29], v[126:127], v[104:105]
	v_pk_add_f32 v[50:51], v[26:27], v[48:49] op_sel:[0,1] op_sel_hi:[1,0] neg_lo:[0,1] neg_hi:[0,1]
	v_pk_add_f32 v[26:27], v[26:27], v[48:49] op_sel:[0,1] op_sel_hi:[1,0]
	v_mul_u32_u24_e32 v1, 0xe10, v144
	v_lshlrev_b32_e32 v3, 3, v145
	v_pk_add_f32 v[28:29], v[28:29], v[102:103]
	v_add3_u32 v1, 0, v1, v3
	v_mov_b32_e32 v48, v50
	v_mov_b32_e32 v49, v27
	;; [unrolled: 1-line block ×5, first 2 shown]
	ds_write2_b64 v1, v[28:29], v[48:49] offset1:150
	ds_write_b64 v1, v[26:27] offset:2400
	v_pk_add_f32 v[26:27], v[40:41], v[100:101]
	v_pk_add_f32 v[28:29], v[124:125], v[40:41]
	v_pk_add_f32 v[40:41], v[40:41], v[100:101] neg_lo:[0,1] neg_hi:[0,1]
	v_pk_fma_f32 v[26:27], v[26:27], 0.5, v[124:125] op_sel_hi:[1,0,1] neg_lo:[1,0,0] neg_hi:[1,0,0]
	v_pk_mul_f32 v[40:41], v[40:41], s[2:3] op_sel_hi:[1,0]
	v_mul_u32_u24_e32 v1, 0xe10, v142
	v_pk_add_f32 v[42:43], v[26:27], v[40:41] op_sel:[0,1] op_sel_hi:[1,0] neg_lo:[0,1] neg_hi:[0,1]
	v_pk_add_f32 v[26:27], v[26:27], v[40:41] op_sel:[0,1] op_sel_hi:[1,0]
	v_lshlrev_b32_e32 v3, 3, v143
	v_add3_u32 v1, 0, v1, v3
	v_mov_b32_e32 v41, v27
	v_mov_b32_e32 v27, v43
	;; [unrolled: 1-line block ×4, first 2 shown]
	ds_write_b64 v1, v[26:27] offset:2400
	v_pk_add_f32 v[26:27], v[96:97], v[98:99]
	v_pk_add_f32 v[34:35], v[96:97], v[98:99] neg_lo:[0,1] neg_hi:[0,1]
	v_pk_add_f32 v[28:29], v[28:29], v[100:101]
	v_mov_b32_e32 v40, v42
	v_pk_fma_f32 v[26:27], v[26:27], 0.5, v[136:137] op_sel_hi:[1,0,1] neg_lo:[1,0,0] neg_hi:[1,0,0]
	v_pk_mul_f32 v[34:35], v[34:35], s[2:3] op_sel_hi:[1,0]
	ds_write2_b64 v1, v[28:29], v[40:41] offset1:150
	v_pk_add_f32 v[28:29], v[136:137], v[96:97]
	v_pk_add_f32 v[38:39], v[26:27], v[34:35] op_sel:[0,1] op_sel_hi:[1,0] neg_lo:[0,1] neg_hi:[0,1]
	v_pk_add_f32 v[26:27], v[26:27], v[34:35] op_sel:[0,1] op_sel_hi:[1,0]
	v_mul_u32_u24_e32 v1, 0xe10, v140
	v_lshlrev_b32_e32 v3, 3, v141
	v_pk_add_f32 v[28:29], v[28:29], v[98:99]
	v_add3_u32 v1, 0, v1, v3
	v_mov_b32_e32 v34, v38
	v_mov_b32_e32 v35, v27
	;; [unrolled: 1-line block ×4, first 2 shown]
	ds_write2_b64 v1, v[28:29], v[34:35] offset1:150
	v_mov_b32_e32 v27, v39
	v_pk_add_f32 v[28:29], v[92:93], v[94:95]
	v_pk_add_f32 v[34:35], v[92:93], v[94:95] neg_lo:[0,1] neg_hi:[0,1]
	ds_write_b64 v1, v[26:27] offset:2400
	v_pk_add_f32 v[26:27], v[30:31], v[92:93]
	v_pk_fma_f32 v[28:29], v[28:29], 0.5, v[30:31] op_sel_hi:[1,0,1] neg_lo:[1,0,0] neg_hi:[1,0,0]
	v_pk_mul_f32 v[30:31], v[34:35], s[2:3] op_sel_hi:[1,0]
	v_mul_u32_u24_e32 v1, 0xe10, v81
	v_pk_add_f32 v[34:35], v[28:29], v[30:31] op_sel:[0,1] op_sel_hi:[1,0] neg_lo:[0,1] neg_hi:[0,1]
	v_pk_add_f32 v[28:29], v[28:29], v[30:31] op_sel:[0,1] op_sel_hi:[1,0]
	v_lshlrev_b32_e32 v3, 3, v121
	v_pk_add_f32 v[26:27], v[26:27], v[94:95]
	v_add3_u32 v1, 0, v1, v3
	v_mov_b32_e32 v30, v34
	v_mov_b32_e32 v31, v29
	;; [unrolled: 1-line block ×4, first 2 shown]
	ds_write2_b64 v1, v[26:27], v[30:31] offset1:150
	v_mov_b32_e32 v29, v35
	v_pk_add_f32 v[30:31], v[88:89], v[86:87] neg_lo:[0,1] neg_hi:[0,1]
	ds_write_b64 v1, v[28:29] offset:2400
	v_pk_add_f32 v[26:27], v[88:89], v[86:87]
	v_pk_mul_f32 v[30:31], v[30:31], s[2:3] op_sel_hi:[1,0]
	v_perm_b32 v1, v24, v25, s3
	s_movk_i32 s3, 0xe10
	v_pk_fma_f32 v[26:27], v[26:27], 0.5, v[32:33] op_sel_hi:[1,0,1] neg_lo:[1,0,0] neg_hi:[1,0,0]
	v_pk_mul_lo_u16 v5, v1, s3 op_sel_hi:[1,0]
	v_pk_add_f32 v[28:29], v[32:33], v[88:89]
	v_pk_add_f32 v[32:33], v[26:27], v[30:31] op_sel:[0,1] op_sel_hi:[1,0] neg_lo:[0,1] neg_hi:[0,1]
	v_pk_add_f32 v[26:27], v[26:27], v[30:31] op_sel:[0,1] op_sel_hi:[1,0]
	v_lshlrev_b32_e32 v1, 3, v47
	v_and_b32_e32 v3, 0xfff0, v5
	v_pk_add_f32 v[28:29], v[28:29], v[86:87]
	v_add3_u32 v16, 0, v3, v1
	v_mov_b32_e32 v24, v32
	v_mov_b32_e32 v25, v27
	;; [unrolled: 1-line block ×5, first 2 shown]
	ds_write2_b64 v16, v[28:29], v[24:25] offset1:150
	ds_write_b64 v16, v[26:27] offset:2400
	v_pk_add_f32 v[16:17], v[128:129], v[2:3]
	v_pk_add_f32 v[18:19], v[2:3], v[10:11]
	v_pk_add_f32 v[2:3], v[2:3], v[10:11] neg_lo:[0,1] neg_hi:[0,1]
	v_pk_fma_f32 v[18:19], v[18:19], 0.5, v[128:129] op_sel_hi:[1,0,1] neg_lo:[1,0,0] neg_hi:[1,0,0]
	v_pk_mul_f32 v[2:3], v[2:3], s[2:3] op_sel_hi:[1,0]
	v_mov_b32_e32 v7, v13
	v_lshrrev_b32_e32 v5, 16, v5
	v_lshlrev_b32_e32 v12, 3, v23
	v_pk_add_f32 v[16:17], v[16:17], v[10:11]
	v_pk_add_f32 v[10:11], v[18:19], v[2:3] op_sel:[0,1] op_sel_hi:[1,0] neg_lo:[0,1] neg_hi:[0,1]
	v_pk_add_f32 v[2:3], v[18:19], v[2:3] op_sel:[0,1] op_sel_hi:[1,0]
	v_mov_b32_e32 v1, v15
	v_add3_u32 v5, 0, v5, v12
	v_pk_add_f32 v[12:13], v[56:57], v[6:7]
	v_mov_b32_e32 v19, v3
	v_mov_b32_e32 v3, v11
	v_pk_add_f32 v[12:13], v[12:13], v[0:1]
	ds_write_b64 v5, v[2:3] offset:2400
	v_pk_add_f32 v[2:3], v[6:7], v[0:1]
	v_pk_add_f32 v[0:1], v[6:7], v[0:1] neg_lo:[0,1] neg_hi:[0,1]
	v_pk_fma_f32 v[2:3], v[2:3], 0.5, v[56:57] op_sel_hi:[1,0,1] neg_lo:[1,0,0] neg_hi:[1,0,0]
	v_pk_mul_f32 v[0:1], v[0:1], s[2:3] op_sel_hi:[1,0]
	v_lshl_add_u32 v15, v22, 3, 0
	v_pk_add_f32 v[6:7], v[2:3], v[0:1] op_sel:[0,1] op_sel_hi:[1,0] neg_lo:[0,1] neg_hi:[0,1]
	v_pk_add_f32 v[0:1], v[2:3], v[0:1] op_sel:[0,1] op_sel_hi:[1,0]
	v_mov_b32_e32 v18, v10
	v_mov_b32_e32 v2, v6
	;; [unrolled: 1-line block ×3, first 2 shown]
	v_add_u32_e32 v1, 0x7000, v15
	ds_write2_b64 v5, v[16:17], v[18:19] offset1:150
	ds_write2_b64 v1, v[12:13], v[2:3] offset0:16 offset1:166
	v_mov_b32_e32 v1, v7
	ds_write_b64 v15, v[0:1] offset:31200
	v_subrev_u32_e32 v0, 45, v62
	v_cmp_gt_u32_e32 vcc, 45, v62
	v_lshl_add_u64 v[10:11], v[64:65], 3, s[4:5]
	s_waitcnt lgkmcnt(0)
	v_cndmask_b32_e32 v15, v0, v68, vcc
	v_lshlrev_b32_e32 v64, 1, v15
	v_lshl_add_u64 v[12:13], v[64:65], 3, s[4:5]
	v_add_u32_e32 v64, 0xb4, v4
	v_lshl_add_u64 v[16:17], v[64:65], 3, s[4:5]
	v_add_u32_e32 v64, 0x1c2, v4
	v_lshl_add_u64 v[18:19], v[64:65], 3, s[4:5]
	s_barrier
	global_load_dwordx4 v[0:3], v[18:19], off offset:3520
	global_load_dwordx4 v[4:7], v[16:17], off offset:3520
	s_movk_i32 s3, 0x1c2
	v_mul_u32_u24_sdwa v16, v72, s6 dst_sel:DWORD dst_unused:UNUSED_PAD src0_sel:WORD_0 src1_sel:DWORD
	v_mul_lo_u16_sdwa v16, v16, s3 dst_sel:DWORD dst_unused:UNUSED_PAD src0_sel:BYTE_3 src1_sel:DWORD
	v_sub_u16_e32 v64, v72, v16
	v_mul_u32_u24_sdwa v22, v70, s6 dst_sel:DWORD dst_unused:UNUSED_PAD src0_sel:WORD_0 src1_sel:DWORD
	v_lshlrev_b32_e32 v16, 4, v64
	v_mul_lo_u16_sdwa v22, v22, s3 dst_sel:DWORD dst_unused:UNUSED_PAD src0_sel:BYTE_3 src1_sel:DWORD
	global_load_dwordx4 v[16:19], v16, s[4:5] offset:3520
	v_sub_u16_e32 v81, v70, v22
	v_lshlrev_b32_e32 v22, 4, v81
	global_load_dwordx4 v[22:25], v22, s[4:5] offset:3520
	v_mul_u32_u24_sdwa v26, v20, s6 dst_sel:DWORD dst_unused:UNUSED_PAD src0_sel:WORD_0 src1_sel:DWORD
	v_mul_lo_u16_sdwa v26, v26, s3 dst_sel:DWORD dst_unused:UNUSED_PAD src0_sel:BYTE_3 src1_sel:DWORD
	v_sub_u16_e32 v121, v20, v26
	v_lshlrev_b32_e32 v26, 4, v121
	global_load_dwordx4 v[26:29], v26, s[4:5] offset:3520
	v_mul_u32_u24_sdwa v144, v21, s6 dst_sel:DWORD dst_unused:UNUSED_PAD src0_sel:WORD_0 src1_sel:DWORD
	v_mul_lo_u16_sdwa v30, v144, s3 dst_sel:DWORD dst_unused:UNUSED_PAD src0_sel:BYTE_3 src1_sel:DWORD
	v_sub_u16_e32 v145, v21, v30
	v_lshlrev_b32_e32 v47, 4, v145
	global_load_dwordx4 v[30:33], v47, s[4:5] offset:3520
	global_load_dwordx4 v[34:37], v[10:11], off offset:3520
	global_load_dwordx4 v[38:41], v[12:13], off offset:3520
	global_load_dwordx4 v[42:45], v[8:9], off offset:3520
	v_lshlrev_b32_e32 v12, 1, v46
	v_mov_b32_e32 v13, v65
	v_lshl_add_u64 v[12:13], v[12:13], 3, s[4:5]
	global_load_dwordx4 v[46:49], v[12:13], off offset:3520
	ds_read2_b64 v[50:53], v116 offset0:98 offset1:233
	ds_read2_b64 v[54:57], v115 offset0:40 offset1:175
	v_cmp_lt_u32_e32 vcc, 44, v62
	s_waitcnt vmcnt(9) lgkmcnt(1)
	v_pk_mul_f32 v[58:59], v[52:53], v[0:1] op_sel:[0,1]
	s_nop 0
	v_pk_fma_f32 v[76:77], v[52:53], v[0:1], v[58:59] op_sel:[0,0,1] op_sel_hi:[1,1,0]
	v_pk_fma_f32 v[58:59], v[52:53], v[0:1], v[58:59] op_sel:[0,0,1] op_sel_hi:[1,0,0] neg_lo:[0,0,1] neg_hi:[0,0,1]
	v_mov_b32_e32 v0, v3
	s_waitcnt lgkmcnt(0)
	v_pk_mul_f32 v[0:1], v[56:57], v[0:1] op_sel_hi:[1,0]
	v_mov_b32_e32 v77, v59
	v_pk_fma_f32 v[78:79], v[56:57], v[2:3], v[0:1] op_sel:[0,0,1] op_sel_hi:[1,1,0]
	v_pk_fma_f32 v[82:83], v[56:57], v[2:3], v[0:1] op_sel:[0,0,1] op_sel_hi:[1,0,0] neg_lo:[0,0,1] neg_hi:[0,0,1]
	s_waitcnt vmcnt(8)
	v_pk_mul_f32 v[0:1], v[50:51], v[4:5] op_sel:[0,1]
	v_mov_b32_e32 v79, v83
	v_pk_fma_f32 v[84:85], v[50:51], v[4:5], v[0:1] op_sel:[0,0,1] op_sel_hi:[1,1,0]
	v_pk_fma_f32 v[86:87], v[50:51], v[4:5], v[0:1] op_sel:[0,0,1] op_sel_hi:[1,0,0] neg_lo:[0,0,1] neg_hi:[0,0,1]
	v_mov_b32_e32 v0, v7
	ds_read2_b64 v[50:53], v114 offset0:62 offset1:197
	v_pk_mul_f32 v[0:1], v[54:55], v[0:1] op_sel_hi:[1,0]
	v_mov_b32_e32 v85, v87
	v_pk_fma_f32 v[88:89], v[54:55], v[6:7], v[0:1] op_sel:[0,0,1] op_sel_hi:[1,1,0]
	v_pk_fma_f32 v[6:7], v[54:55], v[6:7], v[0:1] op_sel:[0,0,1] op_sel_hi:[1,0,0] neg_lo:[0,0,1] neg_hi:[0,0,1]
	ds_read2_b64 v[54:57], v119 offset0:68 offset1:203
	s_waitcnt vmcnt(7) lgkmcnt(1)
	v_pk_mul_f32 v[2:3], v[52:53], v[16:17] op_sel:[0,1]
	s_waitcnt vmcnt(6)
	v_mov_b32_e32 v6, v25
	v_pk_fma_f32 v[0:1], v[52:53], v[16:17], v[2:3] op_sel:[0,0,1] op_sel_hi:[1,1,0]
	v_pk_fma_f32 v[52:53], v[52:53], v[16:17], v[2:3] op_sel:[0,0,1] op_sel_hi:[1,0,0] neg_lo:[0,0,1] neg_hi:[0,0,1]
	v_mov_b32_e32 v2, v19
	s_waitcnt lgkmcnt(0)
	v_pk_mul_f32 v[4:5], v[56:57], v[2:3] op_sel_hi:[1,0]
	v_pk_mul_f32 v[16:17], v[50:51], v[22:23] op_sel:[0,1]
	v_pk_fma_f32 v[2:3], v[56:57], v[18:19], v[4:5] op_sel:[0,0,1] op_sel_hi:[1,1,0]
	v_pk_fma_f32 v[56:57], v[56:57], v[18:19], v[4:5] op_sel:[0,0,1] op_sel_hi:[1,0,0] neg_lo:[0,0,1] neg_hi:[0,0,1]
	v_pk_fma_f32 v[4:5], v[50:51], v[22:23], v[16:17] op_sel:[0,0,1] op_sel_hi:[1,1,0]
	v_pk_fma_f32 v[50:51], v[50:51], v[22:23], v[16:17] op_sel:[0,0,1] op_sel_hi:[1,0,0] neg_lo:[0,0,1] neg_hi:[0,0,1]
	ds_read2_b64 v[16:19], v80 offset0:112 offset1:247
	v_pk_mul_f32 v[22:23], v[54:55], v[6:7] op_sel_hi:[1,0]
	s_waitcnt vmcnt(5)
	v_mov_b32_e32 v6, v29
	v_pk_fma_f32 v[90:91], v[54:55], v[24:25], v[22:23] op_sel:[0,0,1] op_sel_hi:[1,1,0]
	v_pk_fma_f32 v[54:55], v[54:55], v[24:25], v[22:23] op_sel:[0,0,1] op_sel_hi:[1,0,0] neg_lo:[0,0,1] neg_hi:[0,0,1]
	ds_read2_b64 v[22:25], v112 offset0:54 offset1:189
	s_waitcnt lgkmcnt(1)
	v_pk_mul_f32 v[92:93], v[18:19], v[26:27] op_sel:[0,1]
	v_add_u32_e32 v1, 0xc00, v110
	v_pk_fma_f32 v[94:95], v[18:19], v[26:27], v[92:93] op_sel:[0,0,1] op_sel_hi:[1,1,0]
	v_pk_fma_f32 v[26:27], v[18:19], v[26:27], v[92:93] op_sel:[0,0,1] op_sel_hi:[1,0,0] neg_lo:[0,0,1] neg_hi:[0,0,1]
	s_waitcnt lgkmcnt(0)
	v_pk_mul_f32 v[18:19], v[24:25], v[6:7] op_sel_hi:[1,0]
	s_waitcnt vmcnt(4)
	v_mov_b32_e32 v6, v33
	v_pk_fma_f32 v[92:93], v[24:25], v[28:29], v[18:19] op_sel:[0,0,1] op_sel_hi:[1,1,0]
	v_pk_fma_f32 v[28:29], v[24:25], v[28:29], v[18:19] op_sel:[0,0,1] op_sel_hi:[1,0,0] neg_lo:[0,0,1] neg_hi:[0,0,1]
	v_pk_mul_f32 v[18:19], v[16:17], v[30:31] op_sel:[0,1]
	v_pk_mul_f32 v[24:25], v[22:23], v[6:7] op_sel_hi:[1,0]
	v_pk_fma_f32 v[96:97], v[16:17], v[30:31], v[18:19] op_sel:[0,0,1] op_sel_hi:[1,1,0]
	v_pk_fma_f32 v[30:31], v[16:17], v[30:31], v[18:19] op_sel:[0,0,1] op_sel_hi:[1,0,0] neg_lo:[0,0,1] neg_hi:[0,0,1]
	ds_read2_b64 v[16:19], v117 offset0:84 offset1:219
	v_pk_fma_f32 v[98:99], v[22:23], v[32:33], v[24:25] op_sel:[0,0,1] op_sel_hi:[1,1,0]
	v_pk_fma_f32 v[32:33], v[22:23], v[32:33], v[24:25] op_sel:[0,0,1] op_sel_hi:[1,0,0] neg_lo:[0,0,1] neg_hi:[0,0,1]
	ds_read2_b64 v[22:25], v120 offset0:26 offset1:161
	s_waitcnt vmcnt(3)
	v_mov_b32_e32 v6, v37
	s_waitcnt lgkmcnt(1)
	v_pk_mul_f32 v[100:101], v[16:17], v[34:35] op_sel:[0,1]
	v_lshlrev_b32_e32 v3, 3, v15
	v_pk_fma_f32 v[102:103], v[16:17], v[34:35], v[100:101] op_sel:[0,0,1] op_sel_hi:[1,1,0]
	v_pk_fma_f32 v[34:35], v[16:17], v[34:35], v[100:101] op_sel:[0,0,1] op_sel_hi:[1,0,0] neg_lo:[0,0,1] neg_hi:[0,0,1]
	s_waitcnt lgkmcnt(0)
	v_pk_mul_f32 v[16:17], v[22:23], v[6:7] op_sel_hi:[1,0]
	s_waitcnt vmcnt(2)
	v_mov_b32_e32 v6, v41
	v_pk_fma_f32 v[100:101], v[22:23], v[36:37], v[16:17] op_sel:[0,0,1] op_sel_hi:[1,1,0]
	v_pk_fma_f32 v[36:37], v[22:23], v[36:37], v[16:17] op_sel:[0,0,1] op_sel_hi:[1,0,0] neg_lo:[0,0,1] neg_hi:[0,0,1]
	v_pk_mul_f32 v[16:17], v[18:19], v[38:39] op_sel:[0,1]
	v_mov_b32_e32 v103, v35
	v_pk_fma_f32 v[104:105], v[18:19], v[38:39], v[16:17] op_sel:[0,0,1] op_sel_hi:[1,1,0]
	v_pk_fma_f32 v[38:39], v[18:19], v[38:39], v[16:17] op_sel:[0,0,1] op_sel_hi:[1,0,0] neg_lo:[0,0,1] neg_hi:[0,0,1]
	v_pk_mul_f32 v[16:17], v[24:25], v[6:7] op_sel_hi:[1,0]
	s_waitcnt vmcnt(0)
	v_mov_b32_e32 v6, v49
	v_pk_fma_f32 v[106:107], v[24:25], v[40:41], v[16:17] op_sel:[0,0,1] op_sel_hi:[1,1,0]
	v_pk_fma_f32 v[40:41], v[24:25], v[40:41], v[16:17] op_sel:[0,0,1] op_sel_hi:[1,0,0] neg_lo:[0,0,1] neg_hi:[0,0,1]
	ds_read_b64 v[22:23], v110 offset:10800
	ds_read2_b64 v[16:19], v113 offset0:12 offset1:147
	ds_read_b64 v[108:109], v111
	ds_read_b64 v[122:123], v63
	;; [unrolled: 1-line block ×3, first 2 shown]
	s_waitcnt lgkmcnt(4)
	v_pk_mul_f32 v[24:25], v[42:43], v[22:23] op_sel:[0,1]
	v_mov_b32_e32 v101, v37
	v_pk_fma_f32 v[126:127], v[42:43], v[22:23], v[24:25] op_sel:[0,0,1] op_sel_hi:[1,1,0]
	v_pk_fma_f32 v[22:23], v[42:43], v[22:23], v[24:25] op_sel:[0,0,1] op_sel_hi:[1,0,0] neg_lo:[1,0,0] neg_hi:[1,0,0]
	s_waitcnt lgkmcnt(3)
	v_pk_mul_f32 v[24:25], v[44:45], v[16:17] op_sel:[0,1]
	v_mov_b32_e32 v127, v23
	v_pk_fma_f32 v[42:43], v[44:45], v[16:17], v[24:25] op_sel:[0,0,1] op_sel_hi:[1,1,0]
	v_pk_fma_f32 v[24:25], v[44:45], v[16:17], v[24:25] op_sel:[0,0,1] op_sel_hi:[1,0,0] neg_lo:[1,0,0] neg_hi:[1,0,0]
	ds_read2_b32 v[16:17], v14 offset0:154 offset1:155
	v_pk_mul_f32 v[44:45], v[18:19], v[6:7] op_sel_hi:[1,0]
	v_mov_b32_e32 v43, v25
	v_pk_fma_f32 v[128:129], v[18:19], v[48:49], v[44:45] op_sel:[0,0,1] op_sel_hi:[1,1,0]
	v_pk_fma_f32 v[44:45], v[18:19], v[48:49], v[44:45] op_sel:[0,0,1] op_sel_hi:[1,0,0] neg_lo:[0,0,1] neg_hi:[0,0,1]
	s_waitcnt lgkmcnt(0)
	v_mov_b32_e32 v6, v17
	v_pk_mul_f32 v[18:19], v[6:7], v[46:47] op_sel_hi:[0,1]
	v_pk_fma_f32 v[48:49], v[46:47], v[16:17], v[18:19] op_sel:[0,0,1] op_sel_hi:[1,1,0]
	v_pk_fma_f32 v[46:47], v[46:47], v[16:17], v[18:19] op_sel:[0,0,1] op_sel_hi:[1,0,0] neg_lo:[1,0,0] neg_hi:[1,0,0]
	ds_read2_b64 v[16:19], v110 offset1:135
	v_pk_add_f32 v[22:23], v[126:127], v[42:43]
	v_pk_add_f32 v[24:25], v[126:127], v[42:43] neg_lo:[0,1] neg_hi:[0,1]
	v_mov_b32_e32 v49, v47
	v_mov_b32_e32 v129, v45
	s_waitcnt lgkmcnt(0)
	v_pk_fma_f32 v[22:23], v[22:23], 0.5, v[16:17] op_sel_hi:[1,0,1] neg_lo:[1,0,0] neg_hi:[1,0,0]
	v_pk_mul_f32 v[24:25], v[24:25], s[2:3] op_sel_hi:[1,0]
	v_pk_add_f32 v[16:17], v[16:17], v[126:127]
	v_pk_add_f32 v[44:45], v[22:23], v[24:25] op_sel:[0,1] op_sel_hi:[1,0] neg_lo:[0,1] neg_hi:[0,1]
	v_pk_add_f32 v[46:47], v[22:23], v[24:25] op_sel:[0,1] op_sel_hi:[1,0]
	v_pk_add_f32 v[22:23], v[48:49], v[128:129]
	v_pk_add_f32 v[24:25], v[48:49], v[128:129] neg_lo:[0,1] neg_hi:[0,1]
	v_pk_fma_f32 v[22:23], v[22:23], 0.5, v[18:19] op_sel_hi:[1,0,1] neg_lo:[1,0,0] neg_hi:[1,0,0]
	v_pk_add_f32 v[18:19], v[18:19], v[48:49]
	v_pk_mul_f32 v[24:25], v[24:25], s[2:3] op_sel_hi:[1,0]
	v_pk_add_f32 v[16:17], v[16:17], v[42:43]
	v_pk_add_f32 v[18:19], v[18:19], v[128:129]
	v_pk_add_f32 v[130:131], v[22:23], v[24:25] op_sel:[0,1] op_sel_hi:[1,0] neg_lo:[0,1] neg_hi:[0,1]
	v_pk_add_f32 v[132:133], v[22:23], v[24:25] op_sel:[0,1] op_sel_hi:[1,0]
	ds_read_b64 v[134:135], v67
	ds_read_b64 v[136:137], v73
	;; [unrolled: 1-line block ×3, first 2 shown]
	ds_read2_b64 v[22:25], v75 offset0:42 offset1:177
	s_waitcnt lgkmcnt(0)
	s_barrier
	ds_write2_b64 v110, v[16:17], v[18:19] offset1:135
	v_pk_add_f32 v[16:17], v[102:103], v[100:101]
	v_pk_add_f32 v[34:35], v[102:103], v[100:101] neg_lo:[0,1] neg_hi:[0,1]
	v_mov_b32_e32 v140, v44
	v_mov_b32_e32 v141, v47
	;; [unrolled: 1-line block ×4, first 2 shown]
	v_pk_fma_f32 v[16:17], v[16:17], 0.5, v[108:109] op_sel_hi:[1,0,1] neg_lo:[1,0,0] neg_hi:[1,0,0]
	v_pk_add_f32 v[18:19], v[108:109], v[102:103]
	v_pk_mul_f32 v[34:35], v[34:35], s[2:3] op_sel_hi:[1,0]
	ds_write2_b64 v1, v[140:141], v[142:143] offset0:66 offset1:201
	v_mov_b32_e32 v47, v45
	v_mov_b32_e32 v133, v131
	v_add_u32_e32 v1, 0x1c00, v110
	v_pk_add_f32 v[18:19], v[18:19], v[100:101]
	v_pk_add_f32 v[36:37], v[16:17], v[34:35] op_sel:[0,1] op_sel_hi:[1,0] neg_lo:[0,1] neg_hi:[0,1]
	v_pk_add_f32 v[16:17], v[16:17], v[34:35] op_sel:[0,1] op_sel_hi:[1,0]
	ds_write2_b64 v1, v[46:47], v[132:133] offset0:4 offset1:139
	v_mov_b32_e32 v105, v39
	ds_write_b64 v111, v[18:19]
	v_mov_b32_e32 v19, v17
	v_mov_b32_e32 v17, v37
	;; [unrolled: 1-line block ×4, first 2 shown]
	ds_write_b64 v111, v[16:17] offset:7200
	v_cndmask_b32_e32 v1, 0, v1, vcc
	v_pk_add_f32 v[16:17], v[122:123], v[104:105]
	v_mov_b32_e32 v18, v36
	v_add3_u32 v1, 0, v1, v3
	v_pk_add_f32 v[16:17], v[16:17], v[106:107]
	ds_write_b64 v111, v[18:19] offset:3600
	ds_write_b64 v1, v[16:17]
	v_pk_add_f32 v[16:17], v[104:105], v[106:107]
	v_pk_add_f32 v[18:19], v[104:105], v[106:107] neg_lo:[0,1] neg_hi:[0,1]
	v_pk_fma_f32 v[16:17], v[16:17], 0.5, v[122:123] op_sel_hi:[1,0,1] neg_lo:[1,0,0] neg_hi:[1,0,0]
	v_pk_mul_f32 v[18:19], v[18:19], s[2:3] op_sel_hi:[1,0]
	v_mov_b32_e32 v89, v7
	v_pk_add_f32 v[34:35], v[16:17], v[18:19] op_sel:[0,1] op_sel_hi:[1,0] neg_lo:[0,1] neg_hi:[0,1]
	v_pk_add_f32 v[16:17], v[16:17], v[18:19] op_sel:[0,1] op_sel_hi:[1,0]
	v_mov_b32_e32 v18, v34
	v_mov_b32_e32 v19, v17
	;; [unrolled: 1-line block ×3, first 2 shown]
	ds_write_b64 v1, v[18:19] offset:3600
	ds_write_b64 v1, v[16:17] offset:7200
	v_pk_add_f32 v[16:17], v[76:77], v[78:79]
	v_pk_add_f32 v[18:19], v[76:77], v[78:79] neg_lo:[0,1] neg_hi:[0,1]
	v_pk_fma_f32 v[16:17], v[16:17], 0.5, v[134:135] op_sel_hi:[1,0,1] neg_lo:[1,0,0] neg_hi:[1,0,0]
	v_pk_mul_f32 v[18:19], v[18:19], s[2:3] op_sel_hi:[1,0]
	v_pk_add_f32 v[6:7], v[84:85], v[88:89]
	v_pk_add_f32 v[34:35], v[16:17], v[18:19] op_sel:[0,1] op_sel_hi:[1,0]
	v_pk_add_f32 v[16:17], v[16:17], v[18:19] op_sel:[0,1] op_sel_hi:[1,0] neg_lo:[0,1] neg_hi:[0,1]
	v_pk_add_f32 v[18:19], v[84:85], v[88:89] neg_lo:[0,1] neg_hi:[0,1]
	v_pk_fma_f32 v[6:7], v[6:7], 0.5, v[124:125] op_sel_hi:[1,0,1] neg_lo:[1,0,0] neg_hi:[1,0,0]
	v_pk_mul_f32 v[18:19], v[18:19], s[2:3] op_sel_hi:[1,0]
	v_add_u32_e32 v1, 0x4800, v110
	v_pk_add_f32 v[36:37], v[6:7], v[18:19] op_sel:[0,1] op_sel_hi:[1,0] neg_lo:[0,1] neg_hi:[0,1]
	v_pk_add_f32 v[6:7], v[6:7], v[18:19] op_sel:[0,1] op_sel_hi:[1,0]
	v_mov_b32_e32 v97, v31
	v_mov_b32_e32 v19, v7
	;; [unrolled: 1-line block ×5, first 2 shown]
	ds_write2_b64 v1, v[6:7], v[34:35] offset0:36 offset1:171
	v_pk_add_f32 v[6:7], v[124:125], v[84:85]
	v_pk_add_f32 v[34:35], v[134:135], v[76:77]
	;; [unrolled: 1-line block ×4, first 2 shown]
	s_movk_i32 s3, 0x2a30
	ds_write2_b64 v14, v[6:7], v[34:35] offset0:32 offset1:167
	v_mov_b32_e32 v99, v33
	v_mul_u32_u24_sdwa v1, v144, s3 dst_sel:DWORD dst_unused:UNUSED_PAD src0_sel:BYTE_3 src1_sel:DWORD
	v_lshlrev_b32_e32 v3, 3, v145
	v_pk_add_f32 v[6:7], v[22:23], v[96:97]
	v_mov_b32_e32 v18, v36
	v_mov_b32_e32 v36, v16
	v_add3_u32 v1, 0, v1, v3
	v_pk_add_f32 v[6:7], v[6:7], v[98:99]
	ds_write2_b64 v116, v[18:19], v[36:37] offset0:98 offset1:233
	ds_write_b64 v1, v[6:7]
	v_pk_add_f32 v[6:7], v[96:97], v[98:99]
	v_pk_add_f32 v[16:17], v[96:97], v[98:99] neg_lo:[0,1] neg_hi:[0,1]
	v_pk_fma_f32 v[6:7], v[6:7], 0.5, v[22:23] op_sel_hi:[1,0,1] neg_lo:[1,0,0] neg_hi:[1,0,0]
	v_pk_mul_f32 v[16:17], v[16:17], s[2:3] op_sel_hi:[1,0]
	v_mov_b32_e32 v95, v27
	v_pk_add_f32 v[18:19], v[6:7], v[16:17] op_sel:[0,1] op_sel_hi:[1,0] neg_lo:[0,1] neg_hi:[0,1]
	v_pk_add_f32 v[6:7], v[6:7], v[16:17] op_sel:[0,1] op_sel_hi:[1,0]
	v_mov_b32_e32 v16, v18
	v_mov_b32_e32 v17, v7
	ds_write_b64 v1, v[16:17] offset:3600
	v_mov_b32_e32 v93, v29
	v_pk_add_f32 v[16:17], v[24:25], v[94:95]
	v_mov_b32_e32 v7, v19
	v_lshl_add_u32 v15, v121, 3, 0
	v_pk_add_f32 v[16:17], v[16:17], v[92:93]
	ds_write_b64 v1, v[6:7] offset:7200
	v_pk_add_f32 v[6:7], v[94:95], v[92:93]
	ds_write_b64 v15, v[16:17] offset:21600
	v_pk_add_f32 v[16:17], v[94:95], v[92:93] neg_lo:[0,1] neg_hi:[0,1]
	v_pk_fma_f32 v[6:7], v[6:7], 0.5, v[24:25] op_sel_hi:[1,0,1] neg_lo:[1,0,0] neg_hi:[1,0,0]
	v_pk_mul_f32 v[16:17], v[16:17], s[2:3] op_sel_hi:[1,0]
	v_mov_b32_e32 v5, v51
	v_pk_add_f32 v[18:19], v[6:7], v[16:17] op_sel:[0,1] op_sel_hi:[1,0] neg_lo:[0,1] neg_hi:[0,1]
	v_pk_add_f32 v[6:7], v[6:7], v[16:17] op_sel:[0,1] op_sel_hi:[1,0]
	v_mov_b32_e32 v91, v55
	v_mov_b32_e32 v17, v7
	;; [unrolled: 1-line block ×3, first 2 shown]
	ds_write_b64 v15, v[6:7] offset:28800
	v_pk_add_f32 v[6:7], v[138:139], v[4:5]
	v_lshl_add_u32 v22, v81, 3, 0
	v_pk_add_f32 v[6:7], v[6:7], v[90:91]
	ds_write_b64 v22, v[6:7] offset:21600
	v_pk_add_f32 v[6:7], v[4:5], v[90:91]
	v_pk_add_f32 v[4:5], v[4:5], v[90:91] neg_lo:[0,1] neg_hi:[0,1]
	v_pk_fma_f32 v[6:7], v[6:7], 0.5, v[138:139] op_sel_hi:[1,0,1] neg_lo:[1,0,0] neg_hi:[1,0,0]
	v_pk_mul_f32 v[4:5], v[4:5], s[2:3] op_sel_hi:[1,0]
	v_mov_b32_e32 v1, v53
	v_mov_b32_e32 v16, v18
	v_pk_add_f32 v[18:19], v[6:7], v[4:5] op_sel:[0,1] op_sel_hi:[1,0] neg_lo:[0,1] neg_hi:[0,1]
	v_pk_add_f32 v[4:5], v[6:7], v[4:5] op_sel:[0,1] op_sel_hi:[1,0]
	v_mov_b32_e32 v3, v57
	ds_write_b64 v15, v[16:17] offset:25200
	v_pk_add_f32 v[16:17], v[136:137], v[0:1]
	v_mov_b32_e32 v6, v18
	v_mov_b32_e32 v7, v5
	;; [unrolled: 1-line block ×3, first 2 shown]
	v_lshl_add_u32 v23, v64, 3, 0
	v_pk_add_f32 v[16:17], v[16:17], v[2:3]
	ds_write_b64 v22, v[6:7] offset:25200
	ds_write_b64 v22, v[4:5] offset:28800
	;; [unrolled: 1-line block ×3, first 2 shown]
	v_pk_add_f32 v[4:5], v[0:1], v[2:3]
	v_pk_add_f32 v[0:1], v[0:1], v[2:3] neg_lo:[0,1] neg_hi:[0,1]
	v_pk_fma_f32 v[4:5], v[4:5], 0.5, v[136:137] op_sel_hi:[1,0,1] neg_lo:[1,0,0] neg_hi:[1,0,0]
	v_pk_mul_f32 v[0:1], v[0:1], s[2:3] op_sel_hi:[1,0]
	v_lshlrev_b32_e32 v64, 1, v68
	v_pk_add_f32 v[2:3], v[4:5], v[0:1] op_sel:[0,1] op_sel_hi:[1,0] neg_lo:[0,1] neg_hi:[0,1]
	v_pk_add_f32 v[0:1], v[4:5], v[0:1] op_sel:[0,1] op_sel_hi:[1,0]
	v_mov_b32_e32 v4, v2
	v_mov_b32_e32 v5, v1
	;; [unrolled: 1-line block ×3, first 2 shown]
	ds_write_b64 v23, v[0:1] offset:28800
	v_add_co_u32_e32 v0, vcc, s11, v10
	ds_write_b64 v23, v[4:5] offset:25200
	s_nop 0
	v_addc_co_u32_e32 v1, vcc, 0, v11, vcc
	s_waitcnt lgkmcnt(0)
	s_barrier
	global_load_dwordx4 v[0:3], v[0:1], off offset:2528
	v_lshl_add_u64 v[4:5], v[64:65], 3, s[4:5]
	v_add_co_u32_e32 v4, vcc, s11, v4
	v_lshlrev_b32_e32 v64, 1, v74
	s_nop 0
	v_addc_co_u32_e32 v5, vcc, 0, v5, vcc
	global_load_dwordx4 v[4:7], v[4:5], off offset:2528
	v_lshl_add_u64 v[10:11], v[64:65], 3, s[4:5]
	v_add_co_u32_e32 v10, vcc, s11, v10
	v_lshlrev_b32_e32 v64, 1, v66
	s_nop 0
	v_addc_co_u32_e32 v11, vcc, 0, v11, vcc
	;; [unrolled: 6-line block ×6, first 2 shown]
	global_load_dwordx4 v[34:37], v[10:11], off offset:2528
	v_lshl_add_u64 v[10:11], v[64:65], 3, s[4:5]
	v_add_co_u32_e32 v10, vcc, s11, v10
	s_nop 1
	v_addc_co_u32_e32 v11, vcc, 0, v11, vcc
	global_load_dwordx4 v[38:41], v[10:11], off offset:2528
	v_add_co_u32_e32 v8, vcc, s11, v8
	s_nop 1
	v_addc_co_u32_e32 v9, vcc, 0, v9, vcc
	global_load_dwordx4 v[8:11], v[8:9], off offset:2528
	;; [unrolled: 4-line block ×3, first 2 shown]
	ds_read2_b64 v[46:49], v117 offset0:84 offset1:219
	ds_read2_b64 v[50:53], v120 offset0:26 offset1:161
	s_waitcnt vmcnt(9) lgkmcnt(1)
	v_pk_mul_f32 v[12:13], v[46:47], v[0:1] op_sel:[0,1]
	s_nop 0
	v_pk_fma_f32 v[20:21], v[46:47], v[0:1], v[12:13] op_sel:[0,0,1] op_sel_hi:[1,1,0]
	v_pk_fma_f32 v[12:13], v[46:47], v[0:1], v[12:13] op_sel:[0,0,1] op_sel_hi:[1,0,0] neg_lo:[0,0,1] neg_hi:[0,0,1]
	v_mov_b32_e32 v0, v3
	s_waitcnt lgkmcnt(0)
	v_pk_mul_f32 v[0:1], v[50:51], v[0:1] op_sel_hi:[1,0]
	v_mov_b32_e32 v21, v13
	v_pk_fma_f32 v[46:47], v[50:51], v[2:3], v[0:1] op_sel:[0,0,1] op_sel_hi:[1,1,0]
	v_pk_fma_f32 v[50:51], v[50:51], v[2:3], v[0:1] op_sel:[0,0,1] op_sel_hi:[1,0,0] neg_lo:[0,0,1] neg_hi:[0,0,1]
	s_waitcnt vmcnt(8)
	v_pk_mul_f32 v[0:1], v[48:49], v[4:5] op_sel:[0,1]
	v_mov_b32_e32 v47, v51
	v_pk_fma_f32 v[54:55], v[48:49], v[4:5], v[0:1] op_sel:[0,0,1] op_sel_hi:[1,1,0]
	v_pk_fma_f32 v[48:49], v[48:49], v[4:5], v[0:1] op_sel:[0,0,1] op_sel_hi:[1,0,0] neg_lo:[0,0,1] neg_hi:[0,0,1]
	v_mov_b32_e32 v4, v7
	ds_read2_b64 v[0:3], v116 offset0:98 offset1:233
	v_pk_mul_f32 v[4:5], v[52:53], v[4:5] op_sel_hi:[1,0]
	v_mov_b32_e32 v55, v49
	v_pk_fma_f32 v[56:57], v[52:53], v[6:7], v[4:5] op_sel:[0,0,1] op_sel_hi:[1,1,0]
	v_pk_fma_f32 v[52:53], v[52:53], v[6:7], v[4:5] op_sel:[0,0,1] op_sel_hi:[1,0,0] neg_lo:[0,0,1] neg_hi:[0,0,1]
	ds_read2_b64 v[4:7], v115 offset0:40 offset1:175
	s_waitcnt vmcnt(7) lgkmcnt(1)
	v_pk_mul_f32 v[58:59], v[0:1], v[16:17] op_sel:[0,1]
	v_mov_b32_e32 v57, v53
	v_pk_fma_f32 v[76:77], v[0:1], v[16:17], v[58:59] op_sel:[0,0,1] op_sel_hi:[1,1,0]
	v_pk_fma_f32 v[16:17], v[0:1], v[16:17], v[58:59] op_sel:[0,0,1] op_sel_hi:[1,0,0] neg_lo:[0,0,1] neg_hi:[0,0,1]
	v_mov_b32_e32 v0, v19
	s_waitcnt lgkmcnt(0)
	v_pk_mul_f32 v[0:1], v[4:5], v[0:1] op_sel_hi:[1,0]
	v_pk_add_f32 v[12:13], v[54:55], v[56:57] neg_lo:[0,1] neg_hi:[0,1]
	v_pk_fma_f32 v[58:59], v[4:5], v[18:19], v[0:1] op_sel:[0,0,1] op_sel_hi:[1,1,0]
	v_pk_fma_f32 v[18:19], v[4:5], v[18:19], v[0:1] op_sel:[0,0,1] op_sel_hi:[1,0,0] neg_lo:[0,0,1] neg_hi:[0,0,1]
	s_waitcnt vmcnt(6)
	v_pk_mul_f32 v[0:1], v[2:3], v[22:23] op_sel:[0,1]
	v_mov_b32_e32 v4, v25
	v_pk_fma_f32 v[78:79], v[2:3], v[22:23], v[0:1] op_sel:[0,0,1] op_sel_hi:[1,1,0]
	v_pk_fma_f32 v[22:23], v[2:3], v[22:23], v[0:1] op_sel:[0,0,1] op_sel_hi:[1,0,0] neg_lo:[0,0,1] neg_hi:[0,0,1]
	ds_read2_b64 v[0:3], v80 offset0:112 offset1:247
	v_pk_mul_f32 v[4:5], v[6:7], v[4:5] op_sel_hi:[1,0]
	v_mov_b32_e32 v77, v17
	v_pk_fma_f32 v[82:83], v[6:7], v[24:25], v[4:5] op_sel:[0,0,1] op_sel_hi:[1,1,0]
	v_pk_fma_f32 v[24:25], v[6:7], v[24:25], v[4:5] op_sel:[0,0,1] op_sel_hi:[1,0,0] neg_lo:[0,0,1] neg_hi:[0,0,1]
	ds_read2_b64 v[4:7], v112 offset0:54 offset1:189
	s_waitcnt vmcnt(5) lgkmcnt(1)
	v_pk_mul_f32 v[84:85], v[0:1], v[26:27] op_sel:[0,1]
	v_pk_mul_f32 v[12:13], v[12:13], s[2:3] op_sel_hi:[1,0]
	v_pk_fma_f32 v[86:87], v[0:1], v[26:27], v[84:85] op_sel:[0,0,1] op_sel_hi:[1,1,0]
	v_pk_fma_f32 v[26:27], v[0:1], v[26:27], v[84:85] op_sel:[0,0,1] op_sel_hi:[1,0,0] neg_lo:[0,0,1] neg_hi:[0,0,1]
	v_mov_b32_e32 v0, v29
	s_waitcnt lgkmcnt(0)
	v_pk_mul_f32 v[0:1], v[4:5], v[0:1] op_sel_hi:[1,0]
	v_mov_b32_e32 v59, v19
	v_pk_fma_f32 v[84:85], v[4:5], v[28:29], v[0:1] op_sel:[0,0,1] op_sel_hi:[1,1,0]
	v_pk_fma_f32 v[28:29], v[4:5], v[28:29], v[0:1] op_sel:[0,0,1] op_sel_hi:[1,0,0] neg_lo:[0,0,1] neg_hi:[0,0,1]
	s_waitcnt vmcnt(4)
	v_pk_mul_f32 v[0:1], v[2:3], v[30:31] op_sel:[0,1]
	v_mov_b32_e32 v4, v33
	v_pk_fma_f32 v[88:89], v[2:3], v[30:31], v[0:1] op_sel:[0,0,1] op_sel_hi:[1,1,0]
	v_pk_fma_f32 v[30:31], v[2:3], v[30:31], v[0:1] op_sel:[0,0,1] op_sel_hi:[1,0,0] neg_lo:[0,0,1] neg_hi:[0,0,1]
	ds_read2_b64 v[0:3], v114 offset0:62 offset1:197
	v_pk_mul_f32 v[4:5], v[6:7], v[4:5] op_sel_hi:[1,0]
	v_pk_add_f32 v[16:17], v[76:77], v[58:59] neg_lo:[0,1] neg_hi:[0,1]
	v_pk_fma_f32 v[90:91], v[6:7], v[32:33], v[4:5] op_sel:[0,0,1] op_sel_hi:[1,1,0]
	v_pk_fma_f32 v[32:33], v[6:7], v[32:33], v[4:5] op_sel:[0,0,1] op_sel_hi:[1,0,0] neg_lo:[0,0,1] neg_hi:[0,0,1]
	ds_read2_b64 v[4:7], v119 offset0:68 offset1:203
	s_waitcnt vmcnt(3) lgkmcnt(1)
	v_pk_mul_f32 v[92:93], v[0:1], v[34:35] op_sel:[0,1]
	v_mov_b32_e32 v79, v23
	v_pk_fma_f32 v[94:95], v[0:1], v[34:35], v[92:93] op_sel:[0,0,1] op_sel_hi:[1,1,0]
	v_pk_fma_f32 v[34:35], v[0:1], v[34:35], v[92:93] op_sel:[0,0,1] op_sel_hi:[1,0,0] neg_lo:[0,0,1] neg_hi:[0,0,1]
	v_mov_b32_e32 v0, v37
	s_waitcnt lgkmcnt(0)
	v_pk_mul_f32 v[0:1], v[4:5], v[0:1] op_sel_hi:[1,0]
	v_pk_mul_f32 v[16:17], v[16:17], s[2:3] op_sel_hi:[1,0]
	v_pk_fma_f32 v[92:93], v[4:5], v[36:37], v[0:1] op_sel:[0,0,1] op_sel_hi:[1,1,0]
	v_pk_fma_f32 v[36:37], v[4:5], v[36:37], v[0:1] op_sel:[0,0,1] op_sel_hi:[1,0,0] neg_lo:[0,0,1] neg_hi:[0,0,1]
	s_waitcnt vmcnt(2)
	v_pk_mul_f32 v[0:1], v[2:3], v[38:39] op_sel:[0,1]
	v_mov_b32_e32 v83, v25
	v_pk_fma_f32 v[96:97], v[2:3], v[38:39], v[0:1] op_sel:[0,0,1] op_sel_hi:[1,1,0]
	v_pk_fma_f32 v[38:39], v[2:3], v[38:39], v[0:1] op_sel:[0,0,1] op_sel_hi:[1,0,0] neg_lo:[0,0,1] neg_hi:[0,0,1]
	v_mov_b32_e32 v0, v41
	v_pk_mul_f32 v[0:1], v[6:7], v[0:1] op_sel_hi:[1,0]
	v_mov_b32_e32 v87, v27
	v_pk_fma_f32 v[98:99], v[6:7], v[40:41], v[0:1] op_sel:[0,0,1] op_sel_hi:[1,1,0]
	v_pk_fma_f32 v[40:41], v[6:7], v[40:41], v[0:1] op_sel:[0,0,1] op_sel_hi:[1,0,0] neg_lo:[0,0,1] neg_hi:[0,0,1]
	ds_read_b64 v[4:5], v110 offset:10800
	ds_read2_b64 v[0:3], v113 offset0:12 offset1:147
	ds_read_b64 v[100:101], v111
	ds_read_b64 v[102:103], v63
	;; [unrolled: 1-line block ×3, first 2 shown]
	s_waitcnt vmcnt(1) lgkmcnt(4)
	v_pk_mul_f32 v[6:7], v[8:9], v[4:5] op_sel:[0,1]
	v_mov_b32_e32 v85, v29
	v_pk_fma_f32 v[106:107], v[8:9], v[4:5], v[6:7] op_sel:[0,0,1] op_sel_hi:[1,1,0]
	v_pk_fma_f32 v[4:5], v[8:9], v[4:5], v[6:7] op_sel:[0,0,1] op_sel_hi:[1,0,0] neg_lo:[1,0,0] neg_hi:[1,0,0]
	s_waitcnt lgkmcnt(3)
	v_pk_mul_f32 v[6:7], v[10:11], v[0:1] op_sel:[0,1]
	s_waitcnt vmcnt(0)
	v_mov_b32_e32 v4, v45
	v_pk_fma_f32 v[8:9], v[10:11], v[0:1], v[6:7] op_sel:[0,0,1] op_sel_hi:[1,1,0]
	v_pk_fma_f32 v[6:7], v[10:11], v[0:1], v[6:7] op_sel:[0,0,1] op_sel_hi:[1,0,0] neg_lo:[1,0,0] neg_hi:[1,0,0]
	ds_read2_b32 v[0:1], v14 offset0:154 offset1:155
	v_pk_mul_f32 v[10:11], v[2:3], v[4:5] op_sel_hi:[1,0]
	v_mov_b32_e32 v107, v5
	v_pk_fma_f32 v[14:15], v[2:3], v[44:45], v[10:11] op_sel:[0,0,1] op_sel_hi:[1,1,0]
	v_pk_fma_f32 v[10:11], v[2:3], v[44:45], v[10:11] op_sel:[0,0,1] op_sel_hi:[1,0,0] neg_lo:[0,0,1] neg_hi:[0,0,1]
	s_waitcnt lgkmcnt(0)
	v_mov_b32_e32 v2, v1
	v_pk_mul_f32 v[2:3], v[2:3], v[42:43] op_sel_hi:[0,1]
	v_pk_fma_f32 v[44:45], v[42:43], v[0:1], v[2:3] op_sel:[0,0,1] op_sel_hi:[1,1,0]
	v_pk_fma_f32 v[42:43], v[42:43], v[0:1], v[2:3] op_sel:[0,0,1] op_sel_hi:[1,0,0] neg_lo:[1,0,0] neg_hi:[1,0,0]
	ds_read2_b64 v[0:3], v110 offset1:135
	v_mov_b32_e32 v9, v7
	v_mov_b32_e32 v45, v43
	;; [unrolled: 1-line block ×4, first 2 shown]
	s_waitcnt lgkmcnt(0)
	v_pk_add_f32 v[4:5], v[0:1], v[106:107]
	v_mov_b32_e32 v91, v33
	v_pk_add_f32 v[10:11], v[4:5], v[8:9]
	v_pk_add_f32 v[4:5], v[2:3], v[44:45]
	v_mov_b32_e32 v95, v35
	v_pk_add_f32 v[42:43], v[4:5], v[14:15]
	ds_read_b64 v[108:109], v67
	ds_read_b64 v[114:115], v71
	ds_read_b64 v[116:117], v73
	ds_read2_b64 v[4:7], v75 offset0:42 offset1:177
	s_waitcnt lgkmcnt(0)
	s_barrier
	ds_write2_b64 v110, v[10:11], v[42:43] offset1:135
	v_pk_add_f32 v[10:11], v[106:107], v[8:9]
	v_pk_add_f32 v[8:9], v[106:107], v[8:9] neg_lo:[0,1] neg_hi:[0,1]
	v_pk_fma_f32 v[0:1], v[10:11], 0.5, v[0:1] op_sel_hi:[1,0,1] neg_lo:[1,0,0] neg_hi:[1,0,0]
	v_pk_add_f32 v[10:11], v[44:45], v[14:15]
	v_pk_mul_f32 v[8:9], v[8:9], s[2:3] op_sel_hi:[1,0]
	v_pk_fma_f32 v[2:3], v[10:11], 0.5, v[2:3] op_sel_hi:[1,0,1] neg_lo:[1,0,0] neg_hi:[1,0,0]
	v_pk_add_f32 v[10:11], v[0:1], v[8:9] op_sel:[0,1] op_sel_hi:[1,0] neg_lo:[0,1] neg_hi:[0,1]
	v_pk_add_f32 v[0:1], v[0:1], v[8:9] op_sel:[0,1] op_sel_hi:[1,0]
	v_pk_add_f32 v[8:9], v[44:45], v[14:15] neg_lo:[0,1] neg_hi:[0,1]
	v_mov_b32_e32 v93, v37
	v_pk_mul_f32 v[8:9], v[8:9], s[2:3] op_sel_hi:[1,0]
	v_mov_b32_e32 v97, v39
	v_pk_add_f32 v[14:15], v[2:3], v[8:9] op_sel:[0,1] op_sel_hi:[1,0] neg_lo:[0,1] neg_hi:[0,1]
	v_pk_add_f32 v[2:3], v[2:3], v[8:9] op_sel:[0,1] op_sel_hi:[1,0]
	v_mov_b32_e32 v9, v1
	v_mov_b32_e32 v43, v3
	;; [unrolled: 1-line block ×4, first 2 shown]
	ds_write2_b64 v113, v[0:1], v[2:3] offset0:12 offset1:147
	v_pk_add_f32 v[0:1], v[100:101], v[20:21]
	v_mov_b32_e32 v8, v10
	v_mov_b32_e32 v42, v14
	v_pk_add_f32 v[0:1], v[0:1], v[46:47]
	ds_write2_b64 v118, v[8:9], v[42:43] offset0:70 offset1:205
	ds_write_b64 v111, v[0:1]
	v_pk_add_f32 v[0:1], v[20:21], v[46:47]
	v_pk_add_f32 v[2:3], v[20:21], v[46:47] neg_lo:[0,1] neg_hi:[0,1]
	v_pk_fma_f32 v[0:1], v[0:1], 0.5, v[100:101] op_sel_hi:[1,0,1] neg_lo:[1,0,0] neg_hi:[1,0,0]
	v_pk_mul_f32 v[2:3], v[2:3], s[2:3] op_sel_hi:[1,0]
	v_pk_add_f32 v[10:11], v[4:5], v[86:87]
	v_pk_add_f32 v[8:9], v[0:1], v[2:3] op_sel:[0,1] op_sel_hi:[1,0] neg_lo:[0,1] neg_hi:[0,1]
	v_pk_add_f32 v[0:1], v[0:1], v[2:3] op_sel:[0,1] op_sel_hi:[1,0]
	v_mov_b32_e32 v2, v8
	v_mov_b32_e32 v3, v1
	;; [unrolled: 1-line block ×3, first 2 shown]
	ds_write_b64 v111, v[0:1] offset:21600
	v_pk_add_f32 v[0:1], v[102:103], v[54:55]
	ds_write_b64 v111, v[2:3] offset:10800
	v_pk_add_f32 v[0:1], v[0:1], v[56:57]
	ds_write_b64 v63, v[0:1]
	v_pk_add_f32 v[0:1], v[54:55], v[56:57]
	v_pk_add_f32 v[2:3], v[104:105], v[76:77]
	v_pk_fma_f32 v[0:1], v[0:1], 0.5, v[102:103] op_sel_hi:[1,0,1] neg_lo:[1,0,0] neg_hi:[1,0,0]
	v_pk_add_f32 v[2:3], v[2:3], v[58:59]
	v_pk_add_f32 v[14:15], v[0:1], v[12:13] op_sel:[0,1] op_sel_hi:[1,0] neg_lo:[0,1] neg_hi:[0,1]
	v_pk_add_f32 v[0:1], v[0:1], v[12:13] op_sel:[0,1] op_sel_hi:[1,0]
	v_mov_b32_e32 v12, v14
	v_mov_b32_e32 v13, v1
	v_mov_b32_e32 v1, v15
	ds_write_b64 v63, v[12:13] offset:10800
	ds_write_b64 v63, v[0:1] offset:21600
	ds_write_b64 v69, v[2:3]
	v_pk_add_f32 v[2:3], v[76:77], v[58:59]
	v_pk_add_f32 v[8:9], v[108:109], v[78:79]
	v_pk_fma_f32 v[2:3], v[2:3], 0.5, v[104:105] op_sel_hi:[1,0,1] neg_lo:[1,0,0] neg_hi:[1,0,0]
	v_pk_add_f32 v[8:9], v[8:9], v[82:83]
	v_pk_add_f32 v[18:19], v[2:3], v[16:17] op_sel:[0,1] op_sel_hi:[1,0] neg_lo:[0,1] neg_hi:[0,1]
	v_pk_add_f32 v[2:3], v[2:3], v[16:17] op_sel:[0,1] op_sel_hi:[1,0]
	v_mov_b32_e32 v16, v18
	v_mov_b32_e32 v17, v3
	;; [unrolled: 1-line block ×3, first 2 shown]
	ds_write_b64 v69, v[16:17] offset:10800
	ds_write_b64 v69, v[2:3] offset:21600
	ds_write_b64 v67, v[8:9]
	v_pk_add_f32 v[2:3], v[78:79], v[82:83]
	v_pk_add_f32 v[8:9], v[78:79], v[82:83] neg_lo:[0,1] neg_hi:[0,1]
	v_pk_fma_f32 v[2:3], v[2:3], 0.5, v[108:109] op_sel_hi:[1,0,1] neg_lo:[1,0,0] neg_hi:[1,0,0]
	v_pk_mul_f32 v[8:9], v[8:9], s[2:3] op_sel_hi:[1,0]
	v_pk_add_f32 v[12:13], v[6:7], v[88:89]
	v_pk_add_f32 v[16:17], v[2:3], v[8:9] op_sel:[0,1] op_sel_hi:[1,0] neg_lo:[0,1] neg_hi:[0,1]
	v_pk_add_f32 v[2:3], v[2:3], v[8:9] op_sel:[0,1] op_sel_hi:[1,0]
	v_mov_b32_e32 v8, v16
	v_mov_b32_e32 v9, v3
	;; [unrolled: 1-line block ×3, first 2 shown]
	ds_write_b64 v67, v[2:3] offset:21600
	v_pk_add_f32 v[2:3], v[86:87], v[84:85]
	ds_write_b64 v67, v[8:9] offset:10800
	v_pk_fma_f32 v[2:3], v[2:3], 0.5, v[4:5] op_sel_hi:[1,0,1] neg_lo:[1,0,0] neg_hi:[1,0,0]
	v_pk_add_f32 v[4:5], v[86:87], v[84:85] neg_lo:[0,1] neg_hi:[0,1]
	v_pk_add_f32 v[10:11], v[10:11], v[84:85]
	v_pk_mul_f32 v[4:5], v[4:5], s[2:3] op_sel_hi:[1,0]
	v_pk_add_f32 v[12:13], v[12:13], v[90:91]
	v_pk_add_f32 v[8:9], v[2:3], v[4:5] op_sel:[0,1] op_sel_hi:[1,0] neg_lo:[0,1] neg_hi:[0,1]
	v_pk_add_f32 v[2:3], v[2:3], v[4:5] op_sel:[0,1] op_sel_hi:[1,0]
	v_mov_b32_e32 v4, v8
	v_mov_b32_e32 v5, v3
	;; [unrolled: 1-line block ×3, first 2 shown]
	v_pk_add_f32 v[8:9], v[88:89], v[90:91]
	ds_write2_b64 v75, v[10:11], v[12:13] offset0:42 offset1:177
	v_pk_fma_f32 v[6:7], v[8:9], 0.5, v[6:7] op_sel_hi:[1,0,1] neg_lo:[1,0,0] neg_hi:[1,0,0]
	v_pk_add_f32 v[8:9], v[88:89], v[90:91] neg_lo:[0,1] neg_hi:[0,1]
	v_pk_add_f32 v[14:15], v[114:115], v[94:95]
	v_pk_mul_f32 v[8:9], v[8:9], s[2:3] op_sel_hi:[1,0]
	v_pk_add_f32 v[14:15], v[14:15], v[92:93]
	v_pk_add_f32 v[10:11], v[6:7], v[8:9] op_sel:[0,1] op_sel_hi:[1,0] neg_lo:[0,1] neg_hi:[0,1]
	v_pk_add_f32 v[6:7], v[6:7], v[8:9] op_sel:[0,1] op_sel_hi:[1,0]
	v_mov_b32_e32 v8, v10
	v_mov_b32_e32 v9, v7
	;; [unrolled: 1-line block ×3, first 2 shown]
	ds_write2_b64 v80, v[4:5], v[8:9] offset0:112 offset1:247
	ds_write2_b64 v112, v[2:3], v[6:7] offset0:54 offset1:189
	ds_write_b64 v71, v[14:15]
	v_pk_add_f32 v[2:3], v[94:95], v[92:93]
	v_pk_add_f32 v[4:5], v[94:95], v[92:93] neg_lo:[0,1] neg_hi:[0,1]
	v_pk_fma_f32 v[2:3], v[2:3], 0.5, v[114:115] op_sel_hi:[1,0,1] neg_lo:[1,0,0] neg_hi:[1,0,0]
	v_pk_mul_f32 v[4:5], v[4:5], s[2:3] op_sel_hi:[1,0]
	v_mov_b32_e32 v99, v41
	v_pk_add_f32 v[0:1], v[116:117], v[96:97]
	v_pk_add_f32 v[6:7], v[2:3], v[4:5] op_sel:[0,1] op_sel_hi:[1,0] neg_lo:[0,1] neg_hi:[0,1]
	v_pk_add_f32 v[2:3], v[2:3], v[4:5] op_sel:[0,1] op_sel_hi:[1,0]
	v_pk_add_f32 v[0:1], v[0:1], v[98:99]
	v_mov_b32_e32 v4, v6
	v_mov_b32_e32 v5, v3
	;; [unrolled: 1-line block ×3, first 2 shown]
	ds_write_b64 v71, v[4:5] offset:10800
	ds_write_b64 v71, v[2:3] offset:21600
	ds_write_b64 v73, v[0:1]
	v_pk_add_f32 v[0:1], v[96:97], v[98:99]
	v_pk_add_f32 v[2:3], v[96:97], v[98:99] neg_lo:[0,1] neg_hi:[0,1]
	v_pk_fma_f32 v[0:1], v[0:1], 0.5, v[116:117] op_sel_hi:[1,0,1] neg_lo:[1,0,0] neg_hi:[1,0,0]
	v_pk_mul_f32 v[2:3], v[2:3], s[2:3] op_sel_hi:[1,0]
	s_nop 0
	v_pk_add_f32 v[4:5], v[0:1], v[2:3] op_sel:[0,1] op_sel_hi:[1,0] neg_lo:[0,1] neg_hi:[0,1]
	v_pk_add_f32 v[0:1], v[0:1], v[2:3] op_sel:[0,1] op_sel_hi:[1,0]
	v_mov_b32_e32 v2, v4
	v_mov_b32_e32 v3, v1
	;; [unrolled: 1-line block ×3, first 2 shown]
	ds_write_b64 v73, v[2:3] offset:10800
	ds_write_b64 v73, v[0:1] offset:21600
	s_waitcnt lgkmcnt(0)
	s_barrier
	s_and_saveexec_b64 s[2:3], s[0:1]
	s_cbranch_execz .LBB0_19
; %bb.18:
	v_lshl_add_u32 v8, v62, 3, 0
	ds_read2_b64 v[0:3], v8 offset1:135
	v_mov_b32_e32 v63, v65
	v_lshl_add_u64 v[4:5], v[62:63], 3, v[60:61]
	v_add_u32_e32 v6, 0x800, v8
	v_add_u32_e32 v64, 0x87, v62
	s_waitcnt lgkmcnt(0)
	global_store_dwordx2 v[4:5], v[0:1], off
	ds_read2_b64 v[4:7], v6 offset0:14 offset1:149
	v_lshl_add_u64 v[0:1], v[64:65], 3, v[60:61]
	v_add_u32_e32 v64, 0x10e, v62
	global_store_dwordx2 v[0:1], v[2:3], off
	v_lshl_add_u64 v[0:1], v[64:65], 3, v[60:61]
	s_waitcnt lgkmcnt(0)
	global_store_dwordx2 v[0:1], v[4:5], off
	v_add_u32_e32 v0, 0x1000, v8
	ds_read2_b64 v[0:3], v0 offset0:28 offset1:163
	v_add_u32_e32 v64, 0x195, v62
	v_lshl_add_u64 v[4:5], v[64:65], 3, v[60:61]
	v_add_u32_e32 v64, 0x21c, v62
	global_store_dwordx2 v[4:5], v[6:7], off
	v_lshl_add_u64 v[4:5], v[64:65], 3, v[60:61]
	s_waitcnt lgkmcnt(0)
	global_store_dwordx2 v[4:5], v[0:1], off
	v_add_u32_e32 v0, 0x1800, v8
	ds_read2_b64 v[4:7], v0 offset0:42 offset1:177
	v_add_u32_e32 v64, 0x2a3, v62
	;; [unrolled: 9-line block ×13, first 2 shown]
	v_lshl_add_u64 v[4:5], v[64:65], 3, v[60:61]
	v_add_u32_e32 v64, 0xec4, v62
	global_store_dwordx2 v[4:5], v[6:7], off
	v_lshl_add_u64 v[4:5], v[64:65], 3, v[60:61]
	v_add_u32_e32 v64, 0xf4b, v62
	s_waitcnt lgkmcnt(0)
	global_store_dwordx2 v[4:5], v[0:1], off
	v_lshl_add_u64 v[0:1], v[64:65], 3, v[60:61]
	global_store_dwordx2 v[0:1], v[2:3], off
.LBB0_19:
	s_endpgm
	.section	.rodata,"a",@progbits
	.p2align	6, 0x0
	.amdhsa_kernel fft_rtc_back_len4050_factors_10_5_3_3_3_3_wgs_135_tpt_135_halfLds_sp_ip_CI_unitstride_sbrr_C2R_dirReg
		.amdhsa_group_segment_fixed_size 0
		.amdhsa_private_segment_fixed_size 0
		.amdhsa_kernarg_size 88
		.amdhsa_user_sgpr_count 2
		.amdhsa_user_sgpr_dispatch_ptr 0
		.amdhsa_user_sgpr_queue_ptr 0
		.amdhsa_user_sgpr_kernarg_segment_ptr 1
		.amdhsa_user_sgpr_dispatch_id 0
		.amdhsa_user_sgpr_kernarg_preload_length 0
		.amdhsa_user_sgpr_kernarg_preload_offset 0
		.amdhsa_user_sgpr_private_segment_size 0
		.amdhsa_uses_dynamic_stack 0
		.amdhsa_enable_private_segment 0
		.amdhsa_system_sgpr_workgroup_id_x 1
		.amdhsa_system_sgpr_workgroup_id_y 0
		.amdhsa_system_sgpr_workgroup_id_z 0
		.amdhsa_system_sgpr_workgroup_info 0
		.amdhsa_system_vgpr_workitem_id 0
		.amdhsa_next_free_vgpr 156
		.amdhsa_next_free_sgpr 22
		.amdhsa_accum_offset 156
		.amdhsa_reserve_vcc 1
		.amdhsa_float_round_mode_32 0
		.amdhsa_float_round_mode_16_64 0
		.amdhsa_float_denorm_mode_32 3
		.amdhsa_float_denorm_mode_16_64 3
		.amdhsa_dx10_clamp 1
		.amdhsa_ieee_mode 1
		.amdhsa_fp16_overflow 0
		.amdhsa_tg_split 0
		.amdhsa_exception_fp_ieee_invalid_op 0
		.amdhsa_exception_fp_denorm_src 0
		.amdhsa_exception_fp_ieee_div_zero 0
		.amdhsa_exception_fp_ieee_overflow 0
		.amdhsa_exception_fp_ieee_underflow 0
		.amdhsa_exception_fp_ieee_inexact 0
		.amdhsa_exception_int_div_zero 0
	.end_amdhsa_kernel
	.text
.Lfunc_end0:
	.size	fft_rtc_back_len4050_factors_10_5_3_3_3_3_wgs_135_tpt_135_halfLds_sp_ip_CI_unitstride_sbrr_C2R_dirReg, .Lfunc_end0-fft_rtc_back_len4050_factors_10_5_3_3_3_3_wgs_135_tpt_135_halfLds_sp_ip_CI_unitstride_sbrr_C2R_dirReg
                                        ; -- End function
	.section	.AMDGPU.csdata,"",@progbits
; Kernel info:
; codeLenInByte = 20664
; NumSgprs: 28
; NumVgprs: 156
; NumAgprs: 0
; TotalNumVgprs: 156
; ScratchSize: 0
; MemoryBound: 0
; FloatMode: 240
; IeeeMode: 1
; LDSByteSize: 0 bytes/workgroup (compile time only)
; SGPRBlocks: 3
; VGPRBlocks: 19
; NumSGPRsForWavesPerEU: 28
; NumVGPRsForWavesPerEU: 156
; AccumOffset: 156
; Occupancy: 3
; WaveLimiterHint : 1
; COMPUTE_PGM_RSRC2:SCRATCH_EN: 0
; COMPUTE_PGM_RSRC2:USER_SGPR: 2
; COMPUTE_PGM_RSRC2:TRAP_HANDLER: 0
; COMPUTE_PGM_RSRC2:TGID_X_EN: 1
; COMPUTE_PGM_RSRC2:TGID_Y_EN: 0
; COMPUTE_PGM_RSRC2:TGID_Z_EN: 0
; COMPUTE_PGM_RSRC2:TIDIG_COMP_CNT: 0
; COMPUTE_PGM_RSRC3_GFX90A:ACCUM_OFFSET: 38
; COMPUTE_PGM_RSRC3_GFX90A:TG_SPLIT: 0
	.text
	.p2alignl 6, 3212836864
	.fill 256, 4, 3212836864
	.type	__hip_cuid_bed18438918b0123,@object ; @__hip_cuid_bed18438918b0123
	.section	.bss,"aw",@nobits
	.globl	__hip_cuid_bed18438918b0123
__hip_cuid_bed18438918b0123:
	.byte	0                               ; 0x0
	.size	__hip_cuid_bed18438918b0123, 1

	.ident	"AMD clang version 19.0.0git (https://github.com/RadeonOpenCompute/llvm-project roc-6.4.0 25133 c7fe45cf4b819c5991fe208aaa96edf142730f1d)"
	.section	".note.GNU-stack","",@progbits
	.addrsig
	.addrsig_sym __hip_cuid_bed18438918b0123
	.amdgpu_metadata
---
amdhsa.kernels:
  - .agpr_count:     0
    .args:
      - .actual_access:  read_only
        .address_space:  global
        .offset:         0
        .size:           8
        .value_kind:     global_buffer
      - .offset:         8
        .size:           8
        .value_kind:     by_value
      - .actual_access:  read_only
        .address_space:  global
        .offset:         16
        .size:           8
        .value_kind:     global_buffer
      - .actual_access:  read_only
        .address_space:  global
        .offset:         24
        .size:           8
        .value_kind:     global_buffer
      - .offset:         32
        .size:           8
        .value_kind:     by_value
      - .actual_access:  read_only
        .address_space:  global
        .offset:         40
        .size:           8
        .value_kind:     global_buffer
      - .actual_access:  read_only
        .address_space:  global
        .offset:         48
        .size:           8
        .value_kind:     global_buffer
      - .offset:         56
        .size:           4
        .value_kind:     by_value
      - .actual_access:  read_only
        .address_space:  global
        .offset:         64
        .size:           8
        .value_kind:     global_buffer
      - .actual_access:  read_only
        .address_space:  global
        .offset:         72
        .size:           8
        .value_kind:     global_buffer
      - .address_space:  global
        .offset:         80
        .size:           8
        .value_kind:     global_buffer
    .group_segment_fixed_size: 0
    .kernarg_segment_align: 8
    .kernarg_segment_size: 88
    .language:       OpenCL C
    .language_version:
      - 2
      - 0
    .max_flat_workgroup_size: 135
    .name:           fft_rtc_back_len4050_factors_10_5_3_3_3_3_wgs_135_tpt_135_halfLds_sp_ip_CI_unitstride_sbrr_C2R_dirReg
    .private_segment_fixed_size: 0
    .sgpr_count:     28
    .sgpr_spill_count: 0
    .symbol:         fft_rtc_back_len4050_factors_10_5_3_3_3_3_wgs_135_tpt_135_halfLds_sp_ip_CI_unitstride_sbrr_C2R_dirReg.kd
    .uniform_work_group_size: 1
    .uses_dynamic_stack: false
    .vgpr_count:     156
    .vgpr_spill_count: 0
    .wavefront_size: 64
amdhsa.target:   amdgcn-amd-amdhsa--gfx950
amdhsa.version:
  - 1
  - 2
...

	.end_amdgpu_metadata
